;; amdgpu-corpus repo=ROCm/rocFFT kind=compiled arch=gfx1030 opt=O3
	.text
	.amdgcn_target "amdgcn-amd-amdhsa--gfx1030"
	.amdhsa_code_object_version 6
	.protected	fft_rtc_fwd_len182_factors_13_2_7_wgs_52_tpt_13_dp_ip_CI_unitstride_sbrr_R2C_dirReg ; -- Begin function fft_rtc_fwd_len182_factors_13_2_7_wgs_52_tpt_13_dp_ip_CI_unitstride_sbrr_R2C_dirReg
	.globl	fft_rtc_fwd_len182_factors_13_2_7_wgs_52_tpt_13_dp_ip_CI_unitstride_sbrr_R2C_dirReg
	.p2align	8
	.type	fft_rtc_fwd_len182_factors_13_2_7_wgs_52_tpt_13_dp_ip_CI_unitstride_sbrr_R2C_dirReg,@function
fft_rtc_fwd_len182_factors_13_2_7_wgs_52_tpt_13_dp_ip_CI_unitstride_sbrr_R2C_dirReg: ; @fft_rtc_fwd_len182_factors_13_2_7_wgs_52_tpt_13_dp_ip_CI_unitstride_sbrr_R2C_dirReg
; %bb.0:
	s_clause 0x2
	s_load_dwordx4 s[8:11], s[4:5], 0x0
	s_load_dwordx2 s[2:3], s[4:5], 0x50
	s_load_dwordx2 s[12:13], s[4:5], 0x18
	v_mul_u32_u24_e32 v1, 0x13b2, v0
	v_mov_b32_e32 v3, 0
	v_lshrrev_b32_e32 v9, 16, v1
	v_mov_b32_e32 v1, 0
	v_mov_b32_e32 v6, v3
	v_mov_b32_e32 v2, 0
	v_lshl_add_u32 v5, s6, 2, v9
	s_waitcnt lgkmcnt(0)
	v_cmp_lt_u64_e64 s0, s[10:11], 2
	s_and_b32 vcc_lo, exec_lo, s0
	s_cbranch_vccnz .LBB0_8
; %bb.1:
	s_load_dwordx2 s[0:1], s[4:5], 0x10
	v_mov_b32_e32 v1, 0
	s_add_u32 s6, s12, 8
	v_mov_b32_e32 v2, 0
	s_addc_u32 s7, s13, 0
	s_mov_b64 s[16:17], 1
	s_waitcnt lgkmcnt(0)
	s_add_u32 s14, s0, 8
	s_addc_u32 s15, s1, 0
.LBB0_2:                                ; =>This Inner Loop Header: Depth=1
	s_load_dwordx2 s[18:19], s[14:15], 0x0
                                        ; implicit-def: $vgpr7_vgpr8
	s_mov_b32 s0, exec_lo
	s_waitcnt lgkmcnt(0)
	v_or_b32_e32 v4, s19, v6
	v_cmpx_ne_u64_e32 0, v[3:4]
	s_xor_b32 s1, exec_lo, s0
	s_cbranch_execz .LBB0_4
; %bb.3:                                ;   in Loop: Header=BB0_2 Depth=1
	v_cvt_f32_u32_e32 v4, s18
	v_cvt_f32_u32_e32 v7, s19
	s_sub_u32 s0, 0, s18
	s_subb_u32 s20, 0, s19
	v_fmac_f32_e32 v4, 0x4f800000, v7
	v_rcp_f32_e32 v4, v4
	v_mul_f32_e32 v4, 0x5f7ffffc, v4
	v_mul_f32_e32 v7, 0x2f800000, v4
	v_trunc_f32_e32 v7, v7
	v_fmac_f32_e32 v4, 0xcf800000, v7
	v_cvt_u32_f32_e32 v7, v7
	v_cvt_u32_f32_e32 v4, v4
	v_mul_lo_u32 v8, s0, v7
	v_mul_hi_u32 v10, s0, v4
	v_mul_lo_u32 v11, s20, v4
	v_add_nc_u32_e32 v8, v10, v8
	v_mul_lo_u32 v10, s0, v4
	v_add_nc_u32_e32 v8, v8, v11
	v_mul_hi_u32 v11, v4, v10
	v_mul_lo_u32 v12, v4, v8
	v_mul_hi_u32 v13, v4, v8
	v_mul_hi_u32 v14, v7, v10
	v_mul_lo_u32 v10, v7, v10
	v_mul_hi_u32 v15, v7, v8
	v_mul_lo_u32 v8, v7, v8
	v_add_co_u32 v11, vcc_lo, v11, v12
	v_add_co_ci_u32_e32 v12, vcc_lo, 0, v13, vcc_lo
	v_add_co_u32 v10, vcc_lo, v11, v10
	v_add_co_ci_u32_e32 v10, vcc_lo, v12, v14, vcc_lo
	v_add_co_ci_u32_e32 v11, vcc_lo, 0, v15, vcc_lo
	v_add_co_u32 v8, vcc_lo, v10, v8
	v_add_co_ci_u32_e32 v10, vcc_lo, 0, v11, vcc_lo
	v_add_co_u32 v4, vcc_lo, v4, v8
	v_add_co_ci_u32_e32 v7, vcc_lo, v7, v10, vcc_lo
	v_mul_hi_u32 v8, s0, v4
	v_mul_lo_u32 v11, s20, v4
	v_mul_lo_u32 v10, s0, v7
	v_add_nc_u32_e32 v8, v8, v10
	v_mul_lo_u32 v10, s0, v4
	v_add_nc_u32_e32 v8, v8, v11
	v_mul_hi_u32 v11, v4, v10
	v_mul_lo_u32 v12, v4, v8
	v_mul_hi_u32 v13, v4, v8
	v_mul_hi_u32 v14, v7, v10
	v_mul_lo_u32 v10, v7, v10
	v_mul_hi_u32 v15, v7, v8
	v_mul_lo_u32 v8, v7, v8
	v_add_co_u32 v11, vcc_lo, v11, v12
	v_add_co_ci_u32_e32 v12, vcc_lo, 0, v13, vcc_lo
	v_add_co_u32 v10, vcc_lo, v11, v10
	v_add_co_ci_u32_e32 v10, vcc_lo, v12, v14, vcc_lo
	v_add_co_ci_u32_e32 v11, vcc_lo, 0, v15, vcc_lo
	v_add_co_u32 v8, vcc_lo, v10, v8
	v_add_co_ci_u32_e32 v10, vcc_lo, 0, v11, vcc_lo
	v_add_co_u32 v4, vcc_lo, v4, v8
	v_add_co_ci_u32_e32 v12, vcc_lo, v7, v10, vcc_lo
	v_mul_hi_u32 v14, v5, v4
	v_mad_u64_u32 v[10:11], null, v6, v4, 0
	v_mad_u64_u32 v[7:8], null, v5, v12, 0
	;; [unrolled: 1-line block ×3, first 2 shown]
	v_add_co_u32 v4, vcc_lo, v14, v7
	v_add_co_ci_u32_e32 v7, vcc_lo, 0, v8, vcc_lo
	v_add_co_u32 v4, vcc_lo, v4, v10
	v_add_co_ci_u32_e32 v4, vcc_lo, v7, v11, vcc_lo
	v_add_co_ci_u32_e32 v7, vcc_lo, 0, v13, vcc_lo
	v_add_co_u32 v4, vcc_lo, v4, v12
	v_add_co_ci_u32_e32 v10, vcc_lo, 0, v7, vcc_lo
	v_mul_lo_u32 v11, s19, v4
	v_mad_u64_u32 v[7:8], null, s18, v4, 0
	v_mul_lo_u32 v12, s18, v10
	v_sub_co_u32 v7, vcc_lo, v5, v7
	v_add3_u32 v8, v8, v12, v11
	v_sub_nc_u32_e32 v11, v6, v8
	v_subrev_co_ci_u32_e64 v11, s0, s19, v11, vcc_lo
	v_add_co_u32 v12, s0, v4, 2
	v_add_co_ci_u32_e64 v13, s0, 0, v10, s0
	v_sub_co_u32 v14, s0, v7, s18
	v_sub_co_ci_u32_e32 v8, vcc_lo, v6, v8, vcc_lo
	v_subrev_co_ci_u32_e64 v11, s0, 0, v11, s0
	v_cmp_le_u32_e32 vcc_lo, s18, v14
	v_cmp_eq_u32_e64 s0, s19, v8
	v_cndmask_b32_e64 v14, 0, -1, vcc_lo
	v_cmp_le_u32_e32 vcc_lo, s19, v11
	v_cndmask_b32_e64 v15, 0, -1, vcc_lo
	v_cmp_le_u32_e32 vcc_lo, s18, v7
	;; [unrolled: 2-line block ×3, first 2 shown]
	v_cndmask_b32_e64 v16, 0, -1, vcc_lo
	v_cmp_eq_u32_e32 vcc_lo, s19, v11
	v_cndmask_b32_e64 v7, v16, v7, s0
	v_cndmask_b32_e32 v11, v15, v14, vcc_lo
	v_add_co_u32 v14, vcc_lo, v4, 1
	v_add_co_ci_u32_e32 v15, vcc_lo, 0, v10, vcc_lo
	v_cmp_ne_u32_e32 vcc_lo, 0, v11
	v_cndmask_b32_e32 v8, v15, v13, vcc_lo
	v_cndmask_b32_e32 v11, v14, v12, vcc_lo
	v_cmp_ne_u32_e32 vcc_lo, 0, v7
	v_cndmask_b32_e32 v8, v10, v8, vcc_lo
	v_cndmask_b32_e32 v7, v4, v11, vcc_lo
.LBB0_4:                                ;   in Loop: Header=BB0_2 Depth=1
	s_andn2_saveexec_b32 s0, s1
	s_cbranch_execz .LBB0_6
; %bb.5:                                ;   in Loop: Header=BB0_2 Depth=1
	v_cvt_f32_u32_e32 v4, s18
	s_sub_i32 s1, 0, s18
	v_rcp_iflag_f32_e32 v4, v4
	v_mul_f32_e32 v4, 0x4f7ffffe, v4
	v_cvt_u32_f32_e32 v4, v4
	v_mul_lo_u32 v7, s1, v4
	v_mul_hi_u32 v7, v4, v7
	v_add_nc_u32_e32 v4, v4, v7
	v_mul_hi_u32 v4, v5, v4
	v_mul_lo_u32 v7, v4, s18
	v_add_nc_u32_e32 v8, 1, v4
	v_sub_nc_u32_e32 v7, v5, v7
	v_subrev_nc_u32_e32 v10, s18, v7
	v_cmp_le_u32_e32 vcc_lo, s18, v7
	v_cndmask_b32_e32 v7, v7, v10, vcc_lo
	v_cndmask_b32_e32 v4, v4, v8, vcc_lo
	v_cmp_le_u32_e32 vcc_lo, s18, v7
	v_add_nc_u32_e32 v8, 1, v4
	v_cndmask_b32_e32 v7, v4, v8, vcc_lo
	v_mov_b32_e32 v8, v3
.LBB0_6:                                ;   in Loop: Header=BB0_2 Depth=1
	s_or_b32 exec_lo, exec_lo, s0
	s_load_dwordx2 s[0:1], s[6:7], 0x0
	v_mul_lo_u32 v4, v8, s18
	v_mul_lo_u32 v12, v7, s19
	v_mad_u64_u32 v[10:11], null, v7, s18, 0
	s_add_u32 s16, s16, 1
	s_addc_u32 s17, s17, 0
	s_add_u32 s6, s6, 8
	s_addc_u32 s7, s7, 0
	;; [unrolled: 2-line block ×3, first 2 shown]
	v_add3_u32 v4, v11, v12, v4
	v_sub_co_u32 v5, vcc_lo, v5, v10
	v_sub_co_ci_u32_e32 v4, vcc_lo, v6, v4, vcc_lo
	s_waitcnt lgkmcnt(0)
	v_mul_lo_u32 v6, s1, v5
	v_mul_lo_u32 v4, s0, v4
	v_mad_u64_u32 v[1:2], null, s0, v5, v[1:2]
	v_cmp_ge_u64_e64 s0, s[16:17], s[10:11]
	s_and_b32 vcc_lo, exec_lo, s0
	v_add3_u32 v2, v6, v2, v4
	s_cbranch_vccnz .LBB0_9
; %bb.7:                                ;   in Loop: Header=BB0_2 Depth=1
	v_mov_b32_e32 v5, v7
	v_mov_b32_e32 v6, v8
	s_branch .LBB0_2
.LBB0_8:
	v_mov_b32_e32 v8, v6
	v_mov_b32_e32 v7, v5
.LBB0_9:
	s_lshl_b64 s[0:1], s[10:11], 3
	v_mul_hi_u32 v3, 0x13b13b14, v0
	s_add_u32 s0, s12, s0
	s_addc_u32 s1, s13, s1
	v_and_b32_e32 v6, 3, v9
	s_load_dwordx2 s[0:1], s[0:1], 0x0
	s_load_dwordx2 s[4:5], s[4:5], 0x20
	v_mul_u32_u24_e32 v3, 13, v3
	v_sub_nc_u32_e32 v72, v0, v3
	v_lshlrev_b32_e32 v105, 4, v72
	s_waitcnt lgkmcnt(0)
	v_mul_lo_u32 v4, s0, v8
	v_mul_lo_u32 v5, s1, v7
	v_mad_u64_u32 v[1:2], null, s0, v7, v[1:2]
	v_cmp_gt_u64_e32 vcc_lo, s[4:5], v[7:8]
	v_add3_u32 v2, v5, v2, v4
	v_mul_u32_u24_e32 v4, 0xb7, v6
	v_lshlrev_b64 v[74:75], 4, v[1:2]
	v_lshlrev_b32_e32 v108, 4, v4
	s_and_saveexec_b32 s1, vcc_lo
	s_cbranch_execz .LBB0_11
; %bb.10:
	v_mov_b32_e32 v73, 0
	v_add_co_u32 v2, s0, s2, v74
	v_add_co_ci_u32_e64 v3, s0, s3, v75, s0
	v_lshlrev_b64 v[0:1], 4, v[72:73]
	v_add3_u32 v56, 0, v108, v105
	v_add_co_u32 v36, s0, v2, v0
	v_add_co_ci_u32_e64 v37, s0, v3, v1, s0
	s_clause 0x5
	global_load_dwordx4 v[0:3], v[36:37], off
	global_load_dwordx4 v[4:7], v[36:37], off offset:208
	global_load_dwordx4 v[8:11], v[36:37], off offset:416
	;; [unrolled: 1-line block ×5, first 2 shown]
	v_add_co_u32 v52, s0, 0x800, v36
	v_add_co_ci_u32_e64 v53, s0, 0, v37, s0
	s_clause 0x7
	global_load_dwordx4 v[24:27], v[36:37], off offset:1248
	global_load_dwordx4 v[28:31], v[36:37], off offset:1456
	;; [unrolled: 1-line block ×8, first 2 shown]
	s_waitcnt vmcnt(13)
	ds_write_b128 v56, v[0:3]
	s_waitcnt vmcnt(12)
	ds_write_b128 v56, v[4:7] offset:208
	s_waitcnt vmcnt(11)
	ds_write_b128 v56, v[8:11] offset:416
	;; [unrolled: 2-line block ×13, first 2 shown]
.LBB0_11:
	s_or_b32 exec_lo, exec_lo, s1
	v_add_nc_u32_e32 v0, 0, v105
	v_add_nc_u32_e32 v106, 0, v108
	s_waitcnt lgkmcnt(0)
	s_barrier
	buffer_gl0_inv
	v_add_nc_u32_e32 v107, v0, v108
	v_add_nc_u32_e32 v104, v106, v105
	s_mov_b32 s4, 0x4267c47c
	s_mov_b32 s5, 0xbfddbe06
	;; [unrolled: 1-line block ×3, first 2 shown]
	ds_read_b128 v[36:39], v107 offset:224
	ds_read_b128 v[32:35], v104
	ds_read_b128 v[0:3], v107 offset:208
	ds_read_b128 v[16:19], v107 offset:432
	;; [unrolled: 1-line block ×6, first 2 shown]
	s_mov_b32 s6, 0xe00740e9
	s_mov_b32 s27, 0xbfea55e2
	;; [unrolled: 1-line block ×15, first 2 shown]
	s_waitcnt lgkmcnt(6)
	v_add_f64 v[4:5], v[32:33], v[36:37]
	v_add_f64 v[6:7], v[34:35], v[38:39]
	s_mov_b32 s12, 0x4bc48dbf
	s_mov_b32 s20, 0xd0032e0c
	;; [unrolled: 1-line block ×18, first 2 shown]
	v_mad_u32_u24 v73, 0xd0, v72, v106
	v_cmp_ne_u32_e64 s0, 0, v72
	s_waitcnt lgkmcnt(3)
	v_add_f64 v[4:5], v[4:5], v[40:41]
	v_add_f64 v[6:7], v[6:7], v[42:43]
	s_mov_b32 s33, exec_lo
	s_waitcnt lgkmcnt(1)
	v_add_f64 v[20:21], v[4:5], v[68:69]
	v_add_f64 v[22:23], v[6:7], v[70:71]
	ds_read_b128 v[64:67], v107 offset:896
	ds_read_b128 v[4:7], v107 offset:1104
	s_waitcnt lgkmcnt(1)
	v_add_f64 v[24:25], v[20:21], v[64:65]
	v_add_f64 v[26:27], v[22:23], v[66:67]
	ds_read_b128 v[60:63], v107 offset:1120
	ds_read_b128 v[56:59], v107 offset:2688
	;; [unrolled: 1-line block ×3, first 2 shown]
	s_waitcnt lgkmcnt(1)
	v_add_f64 v[100:101], v[38:39], -v[58:59]
	v_add_f64 v[28:29], v[24:25], v[60:61]
	v_add_f64 v[30:31], v[26:27], v[62:63]
	ds_read_b128 v[76:79], v107 offset:1344
	ds_read_b128 v[80:83], v107 offset:2464
	;; [unrolled: 1-line block ×3, first 2 shown]
	v_add_f64 v[102:103], v[36:37], -v[56:57]
	v_add_f64 v[113:114], v[36:37], v[56:57]
	ds_read_b128 v[52:55], v107 offset:1552
	v_add_f64 v[115:116], v[38:39], v[58:59]
	s_waitcnt lgkmcnt(2)
	v_add_f64 v[109:110], v[42:43], -v[82:83]
	v_add_f64 v[44:45], v[28:29], v[76:77]
	v_mul_f64 v[117:118], v[100:101], s[4:5]
	v_add_f64 v[46:47], v[30:31], v[78:79]
	ds_read_b128 v[84:87], v107 offset:1568
	ds_read_b128 v[88:91], v107 offset:2240
	;; [unrolled: 1-line block ×3, first 2 shown]
	v_add_f64 v[111:112], v[40:41], -v[80:81]
	v_mul_f64 v[119:120], v[102:103], s[4:5]
	v_add_f64 v[129:130], v[40:41], v[80:81]
	ds_read_b128 v[92:95], v107 offset:2016
	ds_read_b128 v[48:51], v107 offset:1776
	;; [unrolled: 1-line block ×4, first 2 shown]
	v_add_f64 v[131:132], v[42:43], v[82:83]
	v_mul_f64 v[163:164], v[102:103], s[10:11]
	v_mul_f64 v[165:166], v[102:103], s[24:25]
	;; [unrolled: 1-line block ×4, first 2 shown]
	s_waitcnt lgkmcnt(6)
	v_add_f64 v[121:122], v[44:45], v[84:85]
	s_waitcnt lgkmcnt(5)
	v_add_f64 v[125:126], v[70:71], -v[90:91]
	v_fma_f64 v[137:138], v[113:114], s[6:7], -v[117:118]
	v_add_f64 v[123:124], v[46:47], v[86:87]
	v_add_f64 v[127:128], v[68:69], -v[88:89]
	v_mul_f64 v[135:136], v[111:112], s[26:27]
	v_fma_f64 v[139:140], v[115:116], s[6:7], v[119:120]
	s_waitcnt lgkmcnt(3)
	v_add_f64 v[143:144], v[66:67], -v[94:95]
	v_add_f64 v[68:69], v[68:69], v[88:89]
	v_add_f64 v[141:142], v[64:65], -v[92:93]
	v_add_f64 v[70:71], v[70:71], v[90:91]
	s_waitcnt lgkmcnt(0)
	v_add_f64 v[155:156], v[62:63], -v[98:99]
	v_add_f64 v[64:65], v[64:65], v[92:93]
	v_add_f64 v[153:154], v[60:61], -v[96:97]
	v_add_f64 v[66:67], v[66:67], v[94:95]
	v_add_f64 v[60:61], v[60:61], v[96:97]
	;; [unrolled: 1-line block ×3, first 2 shown]
	v_mul_f64 v[169:170], v[109:110], s[24:25]
	v_mul_f64 v[171:172], v[111:112], s[24:25]
	;; [unrolled: 1-line block ×3, first 2 shown]
	v_fma_f64 v[119:120], v[115:116], s[6:7], -v[119:120]
	v_fma_f64 v[149:150], v[129:130], s[28:29], -v[133:134]
	v_add_f64 v[121:122], v[121:122], v[96:97]
	v_mul_f64 v[145:146], v[125:126], s[10:11]
	v_add_f64 v[137:138], v[32:33], v[137:138]
	v_add_f64 v[123:124], v[123:124], v[98:99]
	v_mul_f64 v[147:148], v[127:128], s[10:11]
	v_fma_f64 v[151:152], v[131:132], s[28:29], v[135:136]
	v_add_f64 v[139:140], v[34:35], v[139:140]
	v_mul_f64 v[96:97], v[100:101], s[24:25]
	v_mul_f64 v[98:99], v[100:101], s[18:19]
	;; [unrolled: 1-line block ×3, first 2 shown]
	ds_read_b128 v[44:47], v107 offset:2000
	ds_read_b128 v[40:43], v107 offset:2224
	s_waitcnt lgkmcnt(0)
	s_barrier
	buffer_gl0_inv
	v_fma_f64 v[189:190], v[131:132], s[22:23], v[171:172]
	v_fma_f64 v[171:172], v[131:132], s[22:23], -v[171:172]
	v_add_f64 v[119:120], v[34:35], v[119:120]
	v_add_f64 v[121:122], v[121:122], v[92:93]
	v_mul_f64 v[92:93], v[143:144], s[24:25]
	v_fma_f64 v[157:158], v[68:69], s[16:17], -v[145:146]
	v_add_f64 v[137:138], v[149:150], v[137:138]
	v_add_f64 v[123:124], v[123:124], v[94:95]
	v_mul_f64 v[94:95], v[141:142], s[24:25]
	v_fma_f64 v[159:160], v[70:71], s[16:17], v[147:148]
	v_add_f64 v[139:140], v[151:152], v[139:140]
	v_add_f64 v[151:152], v[78:79], v[86:87]
	v_add_f64 v[78:79], v[78:79], -v[86:87]
	v_add_f64 v[149:150], v[76:77], v[84:85]
	v_add_f64 v[76:77], v[76:77], -v[84:85]
	v_mul_f64 v[84:85], v[100:101], s[26:27]
	v_fma_f64 v[179:180], v[113:114], s[22:23], -v[96:97]
	v_fma_f64 v[96:97], v[113:114], s[22:23], v[96:97]
	v_add_f64 v[86:87], v[121:122], v[88:89]
	v_mul_f64 v[121:122], v[155:156], s[18:19]
	v_fma_f64 v[161:162], v[64:65], s[22:23], -v[92:93]
	v_add_f64 v[137:138], v[157:158], v[137:138]
	v_add_f64 v[88:89], v[123:124], v[90:91]
	v_mul_f64 v[90:91], v[100:101], s[10:11]
	v_mul_f64 v[100:101], v[100:101], s[12:13]
	;; [unrolled: 1-line block ×3, first 2 shown]
	v_fma_f64 v[157:158], v[66:67], s[22:23], v[94:95]
	v_add_f64 v[139:140], v[159:160], v[139:140]
	v_mul_f64 v[159:160], v[102:103], s[26:27]
	v_mul_f64 v[175:176], v[78:79], s[12:13]
	;; [unrolled: 1-line block ×4, first 2 shown]
	v_add_f64 v[179:180], v[32:33], v[179:180]
	v_add_f64 v[96:97], v[32:33], v[96:97]
	;; [unrolled: 1-line block ×3, first 2 shown]
	v_fma_f64 v[181:182], v[60:61], s[20:21], -v[121:122]
	v_fma_f64 v[86:87], v[113:114], s[6:7], v[117:118]
	v_add_f64 v[137:138], v[161:162], v[137:138]
	v_add_f64 v[82:83], v[88:89], v[82:83]
	v_fma_f64 v[88:89], v[113:114], s[28:29], -v[84:85]
	v_fma_f64 v[84:85], v[113:114], s[28:29], v[84:85]
	v_fma_f64 v[117:118], v[113:114], s[16:17], -v[90:91]
	v_fma_f64 v[90:91], v[113:114], s[16:17], v[90:91]
	v_fma_f64 v[161:162], v[62:63], s[20:21], v[123:124]
	v_add_f64 v[139:140], v[157:158], v[139:140]
	v_fma_f64 v[157:158], v[113:114], s[20:21], -v[98:99]
	v_fma_f64 v[98:99], v[113:114], s[20:21], v[98:99]
	v_fma_f64 v[183:184], v[115:116], s[28:29], v[159:160]
	v_fma_f64 v[185:186], v[113:114], s[14:15], -v[100:101]
	v_fma_f64 v[159:160], v[115:116], s[28:29], -v[159:160]
	v_fma_f64 v[100:101], v[113:114], s[14:15], v[100:101]
	v_fma_f64 v[113:114], v[115:116], s[16:17], v[163:164]
	v_fma_f64 v[163:164], v[115:116], s[16:17], -v[163:164]
	v_fma_f64 v[187:188], v[115:116], s[14:15], v[102:103]
	v_fma_f64 v[102:103], v[115:116], s[14:15], -v[102:103]
	v_add_f64 v[56:57], v[80:81], v[56:57]
	v_fma_f64 v[80:81], v[115:116], s[22:23], v[165:166]
	v_add_f64 v[86:87], v[32:33], v[86:87]
	v_add_f64 v[137:138], v[181:182], v[137:138]
	v_fma_f64 v[181:182], v[149:150], s[14:15], -v[175:176]
	v_add_f64 v[58:59], v[82:83], v[58:59]
	v_fma_f64 v[82:83], v[115:116], s[22:23], -v[165:166]
	v_fma_f64 v[165:166], v[115:116], s[20:21], v[167:168]
	v_fma_f64 v[167:168], v[115:116], s[20:21], -v[167:168]
	v_fma_f64 v[115:116], v[129:130], s[22:23], -v[169:170]
	v_add_f64 v[139:140], v[161:162], v[139:140]
	v_fma_f64 v[161:162], v[151:152], s[14:15], v[177:178]
	v_add_f64 v[88:89], v[32:33], v[88:89]
	v_add_f64 v[183:184], v[34:35], v[183:184]
	;; [unrolled: 1-line block ×10, first 2 shown]
	v_fma_f64 v[169:170], v[129:130], s[22:23], v[169:170]
	v_add_f64 v[113:114], v[34:35], v[113:114]
	v_add_f64 v[163:164], v[34:35], v[163:164]
	;; [unrolled: 1-line block ×4, first 2 shown]
	v_mul_f64 v[137:138], v[109:110], s[30:31]
	v_add_f64 v[82:83], v[34:35], v[82:83]
	v_add_f64 v[165:166], v[34:35], v[165:166]
	;; [unrolled: 1-line block ×6, first 2 shown]
	v_mul_f64 v[139:140], v[125:126], s[12:13]
	v_add_f64 v[88:89], v[115:116], v[88:89]
	v_fma_f64 v[115:116], v[129:130], s[14:15], -v[173:174]
	v_add_f64 v[161:162], v[189:190], v[183:184]
	v_fma_f64 v[181:182], v[131:132], s[14:15], v[191:192]
	v_fma_f64 v[173:174], v[129:130], s[14:15], v[173:174]
	v_fma_f64 v[183:184], v[131:132], s[14:15], -v[191:192]
	v_add_f64 v[159:160], v[171:172], v[159:160]
	v_add_f64 v[84:85], v[169:170], v[84:85]
	v_mul_f64 v[169:170], v[127:128], s[12:13]
	v_fma_f64 v[171:172], v[129:130], s[20:21], -v[137:138]
	v_fma_f64 v[137:138], v[129:130], s[20:21], v[137:138]
	v_add_f64 v[115:116], v[115:116], v[117:118]
	v_mul_f64 v[117:118], v[125:126], s[36:37]
	v_add_f64 v[113:114], v[181:182], v[113:114]
	v_fma_f64 v[181:182], v[68:69], s[14:15], -v[139:140]
	v_add_f64 v[90:91], v[173:174], v[90:91]
	v_fma_f64 v[139:140], v[68:69], s[14:15], v[139:140]
	v_add_f64 v[163:164], v[183:184], v[163:164]
	v_mul_f64 v[183:184], v[127:128], s[36:37]
	v_fma_f64 v[173:174], v[70:71], s[14:15], v[169:170]
	v_fma_f64 v[169:170], v[70:71], s[14:15], -v[169:170]
	v_add_f64 v[171:172], v[171:172], v[179:180]
	v_mul_f64 v[179:180], v[143:144], s[30:31]
	v_add_f64 v[96:97], v[137:138], v[96:97]
	v_mul_f64 v[137:138], v[127:128], s[34:35]
	v_add_f64 v[88:89], v[181:182], v[88:89]
	v_mul_f64 v[181:182], v[141:142], s[30:31]
	v_add_f64 v[84:85], v[139:140], v[84:85]
	v_fma_f64 v[139:140], v[70:71], s[22:23], v[183:184]
	v_fma_f64 v[183:184], v[70:71], s[22:23], -v[183:184]
	v_add_f64 v[161:162], v[173:174], v[161:162]
	v_fma_f64 v[173:174], v[68:69], s[22:23], -v[117:118]
	v_add_f64 v[159:160], v[169:170], v[159:160]
	v_fma_f64 v[117:118], v[68:69], s[22:23], v[117:118]
	v_fma_f64 v[169:170], v[64:65], s[20:21], -v[179:180]
	v_fma_f64 v[179:180], v[64:65], s[20:21], v[179:180]
	v_add_f64 v[113:114], v[139:140], v[113:114]
	v_mul_f64 v[139:140], v[143:144], s[34:35]
	v_add_f64 v[163:164], v[183:184], v[163:164]
	v_add_f64 v[115:116], v[173:174], v[115:116]
	v_fma_f64 v[173:174], v[66:67], s[20:21], v[181:182]
	v_fma_f64 v[181:182], v[66:67], s[20:21], -v[181:182]
	v_add_f64 v[90:91], v[117:118], v[90:91]
	v_add_f64 v[88:89], v[169:170], v[88:89]
	v_mul_f64 v[169:170], v[141:142], s[34:35]
	v_add_f64 v[84:85], v[179:180], v[84:85]
	v_mul_f64 v[183:184], v[109:110], s[38:39]
	v_mul_f64 v[109:110], v[109:110], s[34:35]
	v_fma_f64 v[179:180], v[64:65], s[6:7], -v[139:140]
	v_fma_f64 v[139:140], v[64:65], s[6:7], v[139:140]
	v_add_f64 v[161:162], v[173:174], v[161:162]
	v_mul_f64 v[173:174], v[155:156], s[38:39]
	v_add_f64 v[159:160], v[181:182], v[159:160]
	v_fma_f64 v[181:182], v[66:67], s[6:7], v[169:170]
	v_fma_f64 v[169:170], v[66:67], s[6:7], -v[169:170]
	v_add_f64 v[115:116], v[179:180], v[115:116]
	v_add_f64 v[90:91], v[139:140], v[90:91]
	v_fma_f64 v[139:140], v[70:71], s[6:7], v[137:138]
	v_fma_f64 v[137:138], v[70:71], s[6:7], -v[137:138]
	v_fma_f64 v[179:180], v[60:61], s[16:17], -v[173:174]
	v_fma_f64 v[173:174], v[60:61], s[16:17], v[173:174]
	v_add_f64 v[113:114], v[181:182], v[113:114]
	v_mul_f64 v[181:182], v[153:154], s[38:39]
	v_add_f64 v[163:164], v[169:170], v[163:164]
	v_mul_f64 v[169:170], v[125:126], s[26:27]
	v_add_f64 v[88:89], v[179:180], v[88:89]
	v_add_f64 v[84:85], v[173:174], v[84:85]
	v_mul_f64 v[173:174], v[125:126], s[34:35]
	v_mul_f64 v[125:126], v[125:126], s[18:19]
	v_fma_f64 v[179:180], v[62:63], s[16:17], v[181:182]
	v_fma_f64 v[181:182], v[62:63], s[16:17], -v[181:182]
	v_fma_f64 v[117:118], v[68:69], s[6:7], -v[173:174]
	v_fma_f64 v[173:174], v[68:69], s[6:7], v[173:174]
	v_add_f64 v[161:162], v[179:180], v[161:162]
	v_mul_f64 v[179:180], v[111:112], s[30:31]
	v_add_f64 v[159:160], v[181:182], v[159:160]
	v_add_f64 v[117:118], v[117:118], v[171:172]
	v_fma_f64 v[171:172], v[129:130], s[16:17], -v[183:184]
	v_add_f64 v[96:97], v[173:174], v[96:97]
	v_fma_f64 v[181:182], v[131:132], s[20:21], v[179:180]
	v_fma_f64 v[179:180], v[131:132], s[20:21], -v[179:180]
	v_fma_f64 v[173:174], v[68:69], s[28:29], -v[169:170]
	v_fma_f64 v[183:184], v[129:130], s[16:17], v[183:184]
	v_fma_f64 v[169:170], v[68:69], s[28:29], v[169:170]
	v_add_f64 v[157:158], v[171:172], v[157:158]
	v_mul_f64 v[171:172], v[143:144], s[10:11]
	v_add_f64 v[80:81], v[181:182], v[80:81]
	v_mul_f64 v[181:182], v[111:112], s[38:39]
	v_add_f64 v[82:83], v[179:180], v[82:83]
	v_add_f64 v[98:99], v[183:184], v[98:99]
	v_mul_f64 v[111:112], v[111:112], s[34:35]
	v_add_f64 v[157:158], v[173:174], v[157:158]
	v_add_f64 v[80:81], v[139:140], v[80:81]
	v_fma_f64 v[179:180], v[131:132], s[16:17], v[181:182]
	v_mul_f64 v[139:140], v[155:156], s[26:27]
	v_add_f64 v[82:83], v[137:138], v[82:83]
	v_fma_f64 v[181:182], v[131:132], s[16:17], -v[181:182]
	v_add_f64 v[98:99], v[169:170], v[98:99]
	v_mul_f64 v[169:170], v[76:77], s[18:19]
	v_add_f64 v[165:166], v[179:180], v[165:166]
	v_fma_f64 v[179:180], v[64:65], s[16:17], -v[171:172]
	v_fma_f64 v[137:138], v[60:61], s[28:29], -v[139:140]
	v_fma_f64 v[139:140], v[60:61], s[28:29], v[139:140]
	v_add_f64 v[167:168], v[181:182], v[167:168]
	v_fma_f64 v[181:182], v[131:132], s[6:7], v[111:112]
	v_fma_f64 v[111:112], v[131:132], s[6:7], -v[111:112]
	v_fma_f64 v[131:132], v[131:132], s[28:29], -v[135:136]
	v_fma_f64 v[171:172], v[64:65], s[16:17], v[171:172]
	v_mul_f64 v[135:136], v[78:79], s[18:19]
	v_add_f64 v[117:118], v[179:180], v[117:118]
	v_mul_f64 v[179:180], v[153:154], s[26:27]
	v_add_f64 v[115:116], v[137:138], v[115:116]
	;; [unrolled: 2-line block ×3, first 2 shown]
	v_mul_f64 v[90:91], v[155:156], s[40:41]
	v_mul_f64 v[127:128], v[127:128], s[18:19]
	v_add_f64 v[181:182], v[181:182], v[187:188]
	v_add_f64 v[102:103], v[111:112], v[102:103]
	;; [unrolled: 1-line block ×4, first 2 shown]
	v_mul_f64 v[187:188], v[153:154], s[40:41]
	v_fma_f64 v[131:132], v[149:150], s[20:21], -v[135:136]
	v_fma_f64 v[135:136], v[149:150], s[20:21], v[135:136]
	v_fma_f64 v[173:174], v[62:63], s[28:29], v[179:180]
	v_fma_f64 v[179:180], v[62:63], s[28:29], -v[179:180]
	v_fma_f64 v[111:112], v[70:71], s[20:21], v[127:128]
	v_fma_f64 v[127:128], v[70:71], s[20:21], -v[127:128]
	v_add_f64 v[113:114], v[173:174], v[113:114]
	v_fma_f64 v[173:174], v[70:71], s[28:29], v[137:138]
	v_add_f64 v[163:164], v[179:180], v[163:164]
	v_fma_f64 v[179:180], v[60:61], s[14:15], -v[90:91]
	v_fma_f64 v[137:138], v[70:71], s[28:29], -v[137:138]
	;; [unrolled: 1-line block ×3, first 2 shown]
	v_mul_f64 v[147:148], v[155:156], s[34:35]
	v_add_f64 v[111:112], v[111:112], v[181:182]
	v_mul_f64 v[155:156], v[155:156], s[24:25]
	v_add_f64 v[102:103], v[127:128], v[102:103]
	v_mul_f64 v[127:128], v[78:79], s[42:43]
	v_fma_f64 v[90:91], v[60:61], s[14:15], v[90:91]
	v_add_f64 v[165:166], v[173:174], v[165:166]
	v_mul_f64 v[173:174], v[141:142], s[10:11]
	v_add_f64 v[117:118], v[179:180], v[117:118]
	v_mul_f64 v[179:180], v[141:142], s[40:41]
	v_mul_f64 v[141:142], v[141:142], s[42:43]
	v_add_f64 v[137:138], v[137:138], v[167:168]
	v_mul_f64 v[167:168], v[153:154], s[34:35]
	v_mul_f64 v[153:154], v[153:154], s[24:25]
	v_add_f64 v[70:71], v[70:71], v[119:120]
	v_fma_f64 v[119:120], v[60:61], s[6:7], -v[147:148]
	v_fma_f64 v[147:148], v[60:61], s[6:7], v[147:148]
	v_fma_f64 v[183:184], v[66:67], s[16:17], v[173:174]
	v_fma_f64 v[173:174], v[66:67], s[16:17], -v[173:174]
	v_add_f64 v[80:81], v[183:184], v[80:81]
	v_add_f64 v[82:83], v[173:174], v[82:83]
	v_fma_f64 v[173:174], v[66:67], s[14:15], v[179:180]
	v_mul_f64 v[183:184], v[143:144], s[40:41]
	v_mul_f64 v[143:144], v[143:144], s[42:43]
	v_fma_f64 v[179:180], v[66:67], s[14:15], -v[179:180]
	v_add_f64 v[165:166], v[173:174], v[165:166]
	v_fma_f64 v[173:174], v[129:130], s[6:7], -v[109:110]
	v_fma_f64 v[109:110], v[129:130], s[6:7], v[109:110]
	v_fma_f64 v[129:130], v[129:130], s[28:29], v[133:134]
	v_fma_f64 v[171:172], v[64:65], s[14:15], -v[183:184]
	v_fma_f64 v[183:184], v[64:65], s[14:15], v[183:184]
	v_fma_f64 v[181:182], v[64:65], s[28:29], -v[143:144]
	v_fma_f64 v[143:144], v[64:65], s[28:29], v[143:144]
	v_fma_f64 v[64:65], v[64:65], s[22:23], v[92:93]
	v_mul_f64 v[133:134], v[76:77], s[34:35]
	v_fma_f64 v[92:93], v[62:63], s[6:7], v[167:168]
	v_add_f64 v[137:138], v[179:180], v[137:138]
	v_fma_f64 v[167:168], v[62:63], s[6:7], -v[167:168]
	v_fma_f64 v[179:180], v[62:63], s[22:23], v[153:154]
	v_add_f64 v[173:174], v[173:174], v[185:186]
	v_add_f64 v[100:101], v[109:110], v[100:101]
	v_fma_f64 v[109:110], v[68:69], s[20:21], -v[125:126]
	v_fma_f64 v[125:126], v[68:69], s[20:21], v[125:126]
	v_add_f64 v[86:87], v[129:130], v[86:87]
	v_fma_f64 v[68:69], v[68:69], s[16:17], v[145:146]
	v_add_f64 v[157:158], v[171:172], v[157:158]
	v_mul_f64 v[171:172], v[78:79], s[34:35]
	v_add_f64 v[98:99], v[183:184], v[98:99]
	v_mul_f64 v[183:184], v[76:77], s[24:25]
	v_fma_f64 v[145:146], v[151:152], s[20:21], v[169:170]
	v_fma_f64 v[169:170], v[151:152], s[20:21], -v[169:170]
	v_fma_f64 v[129:130], v[151:152], s[6:7], v[133:134]
	v_fma_f64 v[133:134], v[151:152], s[6:7], -v[133:134]
	v_add_f64 v[109:110], v[109:110], v[173:174]
	v_add_f64 v[100:101], v[125:126], v[100:101]
	v_fma_f64 v[125:126], v[66:67], s[28:29], v[141:142]
	v_fma_f64 v[141:142], v[66:67], s[28:29], -v[141:142]
	v_add_f64 v[68:69], v[68:69], v[86:87]
	v_fma_f64 v[66:67], v[66:67], s[22:23], -v[94:95]
	v_fma_f64 v[173:174], v[62:63], s[14:15], v[187:188]
	v_mul_f64 v[86:87], v[76:77], s[42:43]
	v_fma_f64 v[187:188], v[62:63], s[14:15], -v[187:188]
	v_mul_f64 v[94:95], v[78:79], s[24:25]
	v_mul_f64 v[78:79], v[78:79], s[38:39]
	;; [unrolled: 1-line block ×3, first 2 shown]
	v_fma_f64 v[185:186], v[149:150], s[6:7], -v[171:172]
	v_fma_f64 v[171:172], v[149:150], s[6:7], v[171:172]
	v_add_f64 v[98:99], v[147:148], v[98:99]
	v_fma_f64 v[147:148], v[151:152], s[22:23], -v[183:184]
	v_add_f64 v[109:110], v[181:182], v[109:110]
	v_add_f64 v[100:101], v[143:144], v[100:101]
	v_fma_f64 v[143:144], v[62:63], s[22:23], -v[153:154]
	v_add_f64 v[102:103], v[141:142], v[102:103]
	v_fma_f64 v[141:142], v[60:61], s[22:23], v[155:156]
	v_add_f64 v[111:112], v[125:126], v[111:112]
	v_fma_f64 v[125:126], v[60:61], s[22:23], -v[155:156]
	v_add_f64 v[64:65], v[64:65], v[68:69]
	v_add_f64 v[66:67], v[66:67], v[70:71]
	v_fma_f64 v[60:61], v[60:61], s[20:21], v[121:122]
	v_fma_f64 v[62:63], v[62:63], s[20:21], -v[123:124]
	v_add_f64 v[80:81], v[173:174], v[80:81]
	v_fma_f64 v[153:154], v[149:150], s[28:29], -v[127:128]
	v_fma_f64 v[155:156], v[151:152], s[28:29], v[86:87]
	v_add_f64 v[121:122], v[90:91], v[96:97]
	v_add_f64 v[123:124], v[187:188], v[82:83]
	;; [unrolled: 1-line block ×4, first 2 shown]
	v_fma_f64 v[92:93], v[149:150], s[22:23], -v[94:95]
	v_fma_f64 v[94:95], v[149:150], s[22:23], v[94:95]
	v_fma_f64 v[127:128], v[149:150], s[28:29], v[127:128]
	v_fma_f64 v[157:158], v[151:152], s[28:29], -v[86:87]
	v_fma_f64 v[96:97], v[151:152], s[22:23], v[183:184]
	v_add_f64 v[119:120], v[167:168], v[137:138]
	v_fma_f64 v[137:138], v[151:152], s[16:17], v[76:77]
	v_add_f64 v[102:103], v[143:144], v[102:103]
	v_add_f64 v[100:101], v[141:142], v[100:101]
	v_fma_f64 v[141:142], v[149:150], s[16:17], v[78:79]
	v_fma_f64 v[143:144], v[151:152], s[16:17], -v[76:77]
	v_add_f64 v[109:110], v[125:126], v[109:110]
	v_add_f64 v[111:112], v[179:180], v[111:112]
	v_fma_f64 v[125:126], v[149:150], s[16:17], -v[78:79]
	v_add_f64 v[165:166], v[60:61], v[64:65]
	v_add_f64 v[167:168], v[62:63], v[66:67]
	v_fma_f64 v[149:150], v[149:150], s[14:15], v[175:176]
	v_fma_f64 v[151:152], v[151:152], s[14:15], -v[177:178]
	v_add_f64 v[64:65], v[171:172], v[84:85]
	v_add_f64 v[78:79], v[155:156], v[80:81]
	;; [unrolled: 1-line block ×22, first 2 shown]
	ds_write_b128 v73, v[56:59]
	ds_write_b128 v73, v[32:35] offset:16
	ds_write_b128 v73, v[60:63] offset:32
	;; [unrolled: 1-line block ×12, first 2 shown]
	v_cmpx_eq_u32_e32 0, v72
	s_cbranch_execz .LBB0_13
; %bb.12:
	v_add_f64 v[84:85], v[18:19], v[26:27]
	v_add_f64 v[102:103], v[18:19], -v[26:27]
	v_add_f64 v[98:99], v[14:15], v[30:31]
	v_add_f64 v[100:101], v[14:15], -v[30:31]
	v_add_f64 v[92:93], v[16:17], -v[24:25]
	v_add_f64 v[94:95], v[16:17], v[24:25]
	v_add_f64 v[90:91], v[10:11], v[38:39]
	v_add_f64 v[96:97], v[10:11], -v[38:39]
	v_add_f64 v[86:87], v[12:13], -v[28:29]
	v_add_f64 v[88:89], v[12:13], v[28:29]
	v_add_f64 v[76:77], v[6:7], v[42:43]
	v_add_f64 v[78:79], v[8:9], -v[36:37]
	v_add_f64 v[82:83], v[6:7], -v[42:43]
	v_add_f64 v[80:81], v[8:9], v[36:37]
	v_add_f64 v[18:19], v[2:3], v[18:19]
	v_add_f64 v[66:67], v[22:23], v[46:47]
	v_add_f64 v[60:61], v[4:5], -v[40:41]
	v_add_f64 v[70:71], v[22:23], -v[46:47]
	v_add_f64 v[68:69], v[4:5], v[40:41]
	v_add_f64 v[16:17], v[0:1], v[16:17]
	;; [unrolled: 1-line block ×3, first 2 shown]
	v_add_f64 v[34:35], v[20:21], -v[44:45]
	v_mul_f64 v[109:110], v[84:85], s[14:15]
	v_mul_f64 v[111:112], v[102:103], s[12:13]
	;; [unrolled: 1-line block ×15, first 2 shown]
	v_add_f64 v[193:194], v[18:19], v[14:15]
	v_add_f64 v[64:65], v[54:55], -v[50:51]
	v_add_f64 v[62:63], v[20:21], v[44:45]
	v_mul_f64 v[119:120], v[66:67], s[22:23]
	v_mul_f64 v[135:136], v[70:71], s[24:25]
	;; [unrolled: 1-line block ×4, first 2 shown]
	v_fma_f64 v[125:126], v[92:93], s[40:41], v[109:110]
	v_fma_f64 v[129:130], v[94:95], s[14:15], v[111:112]
	v_fma_f64 v[111:112], v[94:95], s[14:15], -v[111:112]
	v_fma_f64 v[109:110], v[92:93], s[12:13], v[109:110]
	v_fma_f64 v[153:154], v[92:93], s[30:31], v[113:114]
	;; [unrolled: 1-line block ×5, first 2 shown]
	v_fma_f64 v[123:124], v[88:89], s[6:7], -v[123:124]
	v_fma_f64 v[121:122], v[86:87], s[34:35], v[121:122]
	v_fma_f64 v[113:114], v[92:93], s[18:19], v[113:114]
	;; [unrolled: 1-line block ×7, first 2 shown]
	v_fma_f64 v[14:15], v[94:95], s[20:21], -v[115:116]
	v_fma_f64 v[18:19], v[78:79], s[42:43], v[151:152]
	v_fma_f64 v[149:150], v[88:89], s[16:17], -v[149:150]
	v_fma_f64 v[151:152], v[78:79], s[26:27], v[151:152]
	v_add_f64 v[32:33], v[52:53], -v[48:49]
	v_add_f64 v[56:57], v[52:53], v[48:49]
	v_add_f64 v[125:126], v[2:3], v[125:126]
	v_add_f64 v[129:130], v[0:1], v[129:130]
	v_add_f64 v[111:112], v[0:1], v[111:112]
	v_add_f64 v[109:110], v[2:3], v[109:110]
	v_add_f64 v[153:154], v[2:3], v[153:154]
	v_add_f64 v[157:158], v[0:1], v[157:158]
	v_mul_f64 v[117:118], v[58:59], s[16:17]
	v_mul_f64 v[133:134], v[64:65], s[38:39]
	;; [unrolled: 1-line block ×4, first 2 shown]
	v_add_f64 v[113:114], v[2:3], v[113:114]
	v_mul_f64 v[175:176], v[90:91], s[6:7]
	v_mul_f64 v[191:192], v[98:99], s[14:15]
	;; [unrolled: 1-line block ×5, first 2 shown]
	v_add_f64 v[14:15], v[0:1], v[14:15]
	v_mul_f64 v[159:160], v[70:71], s[34:35]
	v_mul_f64 v[155:156], v[64:65], s[24:25]
	;; [unrolled: 1-line block ×3, first 2 shown]
	v_add_f64 v[10:11], v[193:194], v[10:11]
	v_mul_f64 v[169:170], v[66:67], s[14:15]
	v_add_f64 v[125:126], v[163:164], v[125:126]
	v_fma_f64 v[163:164], v[80:81], s[20:21], v[139:140]
	v_fma_f64 v[139:140], v[80:81], s[20:21], -v[139:140]
	v_add_f64 v[111:112], v[123:124], v[111:112]
	v_add_f64 v[129:130], v[165:166], v[129:130]
	;; [unrolled: 1-line block ×3, first 2 shown]
	v_mul_f64 v[165:166], v[102:103], s[24:25]
	v_add_f64 v[115:116], v[181:182], v[153:154]
	v_fma_f64 v[153:154], v[80:81], s[28:29], v[167:168]
	v_add_f64 v[157:158], v[183:184], v[157:158]
	v_add_f64 v[181:182], v[16:17], v[12:13]
	v_fma_f64 v[16:17], v[60:61], s[26:27], v[127:128]
	v_fma_f64 v[183:184], v[68:69], s[28:29], v[137:138]
	v_fma_f64 v[137:138], v[68:69], s[28:29], -v[137:138]
	v_mul_f64 v[123:124], v[84:85], s[16:17]
	v_fma_f64 v[12:13], v[92:93], s[36:37], v[173:174]
	v_fma_f64 v[127:128], v[60:61], s[42:43], v[127:128]
	v_add_f64 v[113:114], v[145:146], v[113:114]
	v_fma_f64 v[145:146], v[60:61], s[12:13], v[147:148]
	v_fma_f64 v[173:174], v[92:93], s[24:25], v[173:174]
	;; [unrolled: 1-line block ×3, first 2 shown]
	v_add_f64 v[14:15], v[149:150], v[14:15]
	v_add_f64 v[125:126], v[189:190], v[125:126]
	v_fma_f64 v[149:150], v[88:89], s[20:21], v[187:188]
	v_mul_f64 v[121:122], v[90:91], s[22:23]
	v_add_f64 v[111:112], v[139:140], v[111:112]
	v_add_f64 v[129:130], v[163:164], v[129:130]
	;; [unrolled: 1-line block ×3, first 2 shown]
	v_fma_f64 v[189:190], v[94:95], s[22:23], v[165:166]
	v_fma_f64 v[139:140], v[86:87], s[18:19], v[177:178]
	v_add_f64 v[18:19], v[18:19], v[115:116]
	v_add_f64 v[153:154], v[153:154], v[157:158]
	v_fma_f64 v[157:158], v[34:35], s[36:37], v[119:120]
	v_fma_f64 v[119:120], v[34:35], s[24:25], v[119:120]
	v_mul_f64 v[131:132], v[102:103], s[10:11]
	v_fma_f64 v[177:178], v[86:87], s[30:31], v[177:178]
	v_fma_f64 v[115:116], v[68:69], s[14:15], v[161:162]
	v_add_f64 v[12:13], v[2:3], v[12:13]
	v_mul_f64 v[163:164], v[100:101], s[12:13]
	v_add_f64 v[113:114], v[151:152], v[113:114]
	v_fma_f64 v[151:152], v[80:81], s[28:29], -v[167:168]
	v_fma_f64 v[167:168], v[34:35], s[4:5], v[143:144]
	v_add_f64 v[173:174], v[2:3], v[173:174]
	v_fma_f64 v[143:144], v[34:35], s[34:35], v[143:144]
	v_add_f64 v[16:17], v[16:17], v[125:126]
	v_fma_f64 v[125:126], v[62:63], s[22:23], v[135:136]
	v_fma_f64 v[135:136], v[62:63], s[22:23], -v[135:136]
	v_add_f64 v[111:112], v[137:138], v[111:112]
	v_add_f64 v[129:130], v[183:184], v[129:130]
	;; [unrolled: 1-line block ×3, first 2 shown]
	v_fma_f64 v[137:138], v[94:95], s[22:23], -v[165:166]
	v_fma_f64 v[165:166], v[92:93], s[38:39], v[123:124]
	v_fma_f64 v[183:184], v[32:33], s[10:11], v[117:118]
	;; [unrolled: 1-line block ×3, first 2 shown]
	v_fma_f64 v[133:134], v[56:57], s[16:17], -v[133:134]
	v_add_f64 v[189:190], v[0:1], v[189:190]
	v_fma_f64 v[117:118], v[32:33], s[38:39], v[117:118]
	v_add_f64 v[18:19], v[145:146], v[18:19]
	v_add_f64 v[8:9], v[181:182], v[8:9]
	;; [unrolled: 1-line block ×3, first 2 shown]
	v_fma_f64 v[139:140], v[78:79], s[4:5], v[175:176]
	v_add_f64 v[113:114], v[147:148], v[113:114]
	v_add_f64 v[147:148], v[151:152], v[14:15]
	v_fma_f64 v[151:152], v[86:87], s[40:41], v[191:192]
	v_fma_f64 v[175:176], v[78:79], s[34:35], v[175:176]
	v_add_f64 v[173:174], v[177:178], v[173:174]
	v_add_f64 v[16:17], v[157:158], v[16:17]
	v_fma_f64 v[145:146], v[62:63], s[6:7], v[159:160]
	v_add_f64 v[115:116], v[115:116], v[153:154]
	v_add_f64 v[111:112], v[135:136], v[111:112]
	;; [unrolled: 1-line block ×4, first 2 shown]
	v_fma_f64 v[129:130], v[88:89], s[20:21], -v[187:188]
	v_add_f64 v[135:136], v[0:1], v[137:138]
	v_add_f64 v[157:158], v[2:3], v[165:166]
	v_fma_f64 v[165:166], v[80:81], s[6:7], v[185:186]
	v_fma_f64 v[137:138], v[68:69], s[14:15], -v[161:162]
	v_add_f64 v[149:150], v[149:150], v[189:190]
	v_fma_f64 v[161:162], v[60:61], s[38:39], v[171:172]
	v_fma_f64 v[187:188], v[94:95], s[16:17], v[131:132]
	v_add_f64 v[167:168], v[167:168], v[18:19]
	v_fma_f64 v[119:120], v[56:57], s[22:23], v[155:156]
	v_add_f64 v[139:140], v[139:140], v[12:13]
	v_fma_f64 v[131:132], v[94:95], s[16:17], -v[131:132]
	v_add_f64 v[6:7], v[10:11], v[6:7]
	v_add_f64 v[4:5], v[8:9], v[4:5]
	v_fma_f64 v[10:11], v[78:79], s[36:37], v[121:122]
	v_mul_f64 v[141:142], v[58:59], s[22:23]
	v_add_f64 v[14:15], v[183:184], v[16:17]
	v_add_f64 v[115:116], v[145:146], v[115:116]
	;; [unrolled: 1-line block ×3, first 2 shown]
	v_fma_f64 v[111:112], v[92:93], s[10:11], v[123:124]
	v_add_f64 v[12:13], v[127:128], v[125:126]
	v_add_f64 v[18:19], v[117:118], v[109:110]
	;; [unrolled: 1-line block ×3, first 2 shown]
	v_fma_f64 v[113:114], v[80:81], s[6:7], -v[185:186]
	v_add_f64 v[117:118], v[129:130], v[135:136]
	v_mul_f64 v[127:128], v[76:77], s[6:7]
	v_fma_f64 v[129:130], v[78:79], s[24:25], v[121:122]
	v_add_f64 v[133:134], v[151:152], v[157:158]
	v_add_f64 v[149:150], v[165:166], v[149:150]
	v_fma_f64 v[165:166], v[86:87], s[12:13], v[191:192]
	v_fma_f64 v[123:124], v[62:63], s[6:7], -v[159:160]
	v_add_f64 v[125:126], v[137:138], v[147:148]
	v_mul_f64 v[137:138], v[70:71], s[40:41]
	v_fma_f64 v[143:144], v[68:69], s[16:17], v[179:180]
	v_fma_f64 v[147:148], v[88:89], s[14:15], v[163:164]
	v_add_f64 v[151:152], v[0:1], v[187:188]
	v_add_f64 v[139:140], v[161:162], v[139:140]
	v_fma_f64 v[159:160], v[60:61], s[10:11], v[171:172]
	v_add_f64 v[161:162], v[175:176], v[173:174]
	v_mul_f64 v[145:146], v[96:97], s[36:37]
	v_fma_f64 v[157:158], v[34:35], s[12:13], v[169:170]
	v_add_f64 v[111:112], v[2:3], v[111:112]
	v_add_f64 v[131:132], v[0:1], v[131:132]
	;; [unrolled: 1-line block ×4, first 2 shown]
	v_mul_f64 v[20:21], v[102:103], s[4:5]
	v_add_f64 v[113:114], v[113:114], v[117:118]
	v_fma_f64 v[117:118], v[56:57], s[22:23], -v[155:156]
	v_mul_f64 v[155:156], v[66:67], s[28:29]
	v_fma_f64 v[173:174], v[60:61], s[4:5], v[127:128]
	v_add_f64 v[129:130], v[129:130], v[133:134]
	v_fma_f64 v[171:172], v[68:69], s[16:17], -v[179:180]
	v_mul_f64 v[175:176], v[82:83], s[34:35]
	v_add_f64 v[123:124], v[123:124], v[125:126]
	v_mul_f64 v[125:126], v[64:65], s[42:43]
	v_fma_f64 v[133:134], v[62:63], s[14:15], v[137:138]
	v_add_f64 v[143:144], v[143:144], v[149:150]
	v_add_f64 v[147:148], v[147:148], v[151:152]
	v_fma_f64 v[151:152], v[34:35], s[40:41], v[169:170]
	v_fma_f64 v[121:122], v[62:63], s[14:15], -v[137:138]
	v_add_f64 v[8:9], v[159:160], v[161:162]
	v_fma_f64 v[137:138], v[88:89], s[14:15], -v[163:164]
	v_mul_f64 v[169:170], v[84:85], s[28:29]
	v_add_f64 v[111:112], v[165:166], v[111:112]
	v_mul_f64 v[84:85], v[84:85], s[6:7]
	v_fma_f64 v[177:178], v[80:81], s[22:23], v[145:146]
	v_mul_f64 v[22:23], v[102:103], s[26:27]
	v_mul_f64 v[163:164], v[70:71], s[26:27]
	v_fma_f64 v[127:128], v[60:61], s[34:35], v[127:128]
	v_add_f64 v[6:7], v[6:7], v[54:55]
	v_fma_f64 v[159:160], v[34:35], s[42:43], v[155:156]
	v_add_f64 v[4:5], v[4:5], v[52:53]
	v_add_f64 v[129:130], v[173:174], v[129:130]
	v_fma_f64 v[52:53], v[94:95], s[6:7], -v[20:21]
	v_add_f64 v[113:114], v[171:172], v[113:114]
	v_fma_f64 v[171:172], v[68:69], s[6:7], v[175:176]
	v_fma_f64 v[165:166], v[56:57], s[28:29], v[125:126]
	v_fma_f64 v[102:103], v[56:57], s[28:29], -v[125:126]
	v_add_f64 v[133:134], v[133:134], v[143:144]
	v_mul_f64 v[143:144], v[98:99], s[22:23]
	v_mul_f64 v[98:99], v[98:99], s[28:29]
	v_fma_f64 v[20:21], v[94:95], s[6:7], v[20:21]
	v_add_f64 v[8:9], v[151:152], v[8:9]
	v_add_f64 v[125:126], v[137:138], v[131:132]
	v_mul_f64 v[151:152], v[100:101], s[24:25]
	v_add_f64 v[10:11], v[10:11], v[111:112]
	v_fma_f64 v[111:112], v[80:81], s[22:23], -v[145:146]
	v_fma_f64 v[145:146], v[92:93], s[26:27], v[169:170]
	v_mul_f64 v[100:101], v[100:101], s[26:27]
	v_add_f64 v[147:148], v[177:178], v[147:148]
	v_fma_f64 v[54:55], v[94:95], s[28:29], -v[22:23]
	v_fma_f64 v[137:138], v[62:63], s[28:29], v[163:164]
	v_fma_f64 v[22:23], v[94:95], s[28:29], v[22:23]
	v_add_f64 v[6:7], v[6:7], v[50:51]
	v_add_f64 v[129:130], v[159:160], v[129:130]
	v_fma_f64 v[159:160], v[92:93], s[4:5], v[84:85]
	v_fma_f64 v[84:85], v[92:93], s[34:35], v[84:85]
	v_add_f64 v[4:5], v[4:5], v[48:49]
	v_add_f64 v[48:49], v[0:1], v[52:53]
	v_mul_f64 v[52:53], v[76:77], s[20:21]
	v_mul_f64 v[76:77], v[76:77], s[22:23]
	v_fma_f64 v[94:95], v[86:87], s[24:25], v[143:144]
	v_fma_f64 v[173:174], v[86:87], s[26:27], v[98:99]
	v_mul_f64 v[135:136], v[58:59], s[28:29]
	v_add_f64 v[139:140], v[157:158], v[139:140]
	v_mul_f64 v[157:158], v[58:59], s[20:21]
	v_mul_f64 v[161:162], v[64:65], s[18:19]
	v_add_f64 v[10:11], v[127:128], v[10:11]
	v_fma_f64 v[127:128], v[62:63], s[28:29], -v[163:164]
	v_fma_f64 v[163:164], v[92:93], s[42:43], v[169:170]
	v_add_f64 v[111:112], v[111:112], v[125:126]
	v_mul_f64 v[125:126], v[90:91], s[14:15]
	v_add_f64 v[145:146], v[2:3], v[145:146]
	v_mul_f64 v[90:91], v[90:91], s[16:17]
	v_fma_f64 v[169:170], v[68:69], s[6:7], -v[175:176]
	v_mul_f64 v[92:93], v[96:97], s[12:13]
	v_mul_f64 v[96:97], v[96:97], s[10:11]
	v_add_f64 v[159:160], v[2:3], v[159:160]
	v_fma_f64 v[175:176], v[88:89], s[28:29], -v[100:101]
	v_add_f64 v[147:148], v[171:172], v[147:148]
	v_fma_f64 v[171:172], v[88:89], s[22:23], -v[151:152]
	v_add_f64 v[50:51], v[0:1], v[54:55]
	v_fma_f64 v[54:55], v[86:87], s[36:37], v[143:144]
	v_fma_f64 v[151:152], v[88:89], s[22:23], v[151:152]
	v_add_f64 v[22:23], v[0:1], v[22:23]
	v_fma_f64 v[86:87], v[86:87], s[42:43], v[98:99]
	v_add_f64 v[0:1], v[0:1], v[20:21]
	v_add_f64 v[6:7], v[6:7], v[46:47]
	;; [unrolled: 1-line block ×3, first 2 shown]
	v_fma_f64 v[155:156], v[34:35], s[26:27], v[155:156]
	v_fma_f64 v[149:150], v[32:33], s[26:27], v[135:136]
	v_add_f64 v[143:144], v[2:3], v[163:164]
	v_add_f64 v[2:3], v[2:3], v[84:85]
	v_fma_f64 v[84:85], v[88:89], s[28:29], v[100:101]
	v_fma_f64 v[20:21], v[78:79], s[12:13], v[125:126]
	v_add_f64 v[88:89], v[94:95], v[145:146]
	v_fma_f64 v[98:99], v[78:79], s[10:11], v[90:91]
	v_mul_f64 v[163:164], v[82:83], s[30:31]
	v_mul_f64 v[82:83], v[82:83], s[24:25]
	v_add_f64 v[100:101], v[173:174], v[159:160]
	v_fma_f64 v[145:146], v[80:81], s[16:17], -v[96:97]
	v_add_f64 v[44:45], v[175:176], v[48:49]
	v_fma_f64 v[94:95], v[80:81], s[14:15], -v[92:93]
	v_add_f64 v[46:47], v[171:172], v[50:51]
	v_fma_f64 v[50:51], v[78:79], s[40:41], v[125:126]
	v_fma_f64 v[92:93], v[80:81], s[14:15], v[92:93]
	v_add_f64 v[22:23], v[151:152], v[22:23]
	v_fma_f64 v[78:79], v[78:79], s[38:39], v[90:91]
	v_fma_f64 v[80:81], v[80:81], s[16:17], v[96:97]
	v_mul_f64 v[48:49], v[66:67], s[16:17]
	v_mul_f64 v[66:67], v[66:67], s[20:21]
	v_add_f64 v[6:7], v[6:7], v[42:43]
	v_add_f64 v[4:5], v[4:5], v[40:41]
	;; [unrolled: 1-line block ×5, first 2 shown]
	v_fma_f64 v[84:85], v[60:61], s[30:31], v[52:53]
	v_add_f64 v[20:21], v[20:21], v[88:89]
	v_fma_f64 v[88:89], v[60:61], s[24:25], v[76:77]
	v_mul_f64 v[125:126], v[70:71], s[38:39]
	v_mul_f64 v[70:71], v[70:71], s[18:19]
	v_add_f64 v[90:91], v[98:99], v[100:101]
	v_fma_f64 v[96:97], v[68:69], s[22:23], -v[82:83]
	v_add_f64 v[40:41], v[145:146], v[44:45]
	v_fma_f64 v[86:87], v[68:69], s[20:21], -v[163:164]
	v_add_f64 v[42:43], v[94:95], v[46:47]
	v_fma_f64 v[46:47], v[60:61], s[18:19], v[52:53]
	v_fma_f64 v[60:61], v[60:61], s[36:37], v[76:77]
	v_add_f64 v[22:23], v[92:93], v[22:23]
	v_mul_f64 v[44:45], v[58:59], s[6:7]
	v_mul_f64 v[52:53], v[64:65], s[34:35]
	v_fma_f64 v[76:77], v[34:35], s[38:39], v[48:49]
	v_mul_f64 v[58:59], v[58:59], s[14:15]
	v_add_f64 v[6:7], v[6:7], v[38:39]
	v_add_f64 v[4:5], v[4:5], v[36:37]
	;; [unrolled: 1-line block ×3, first 2 shown]
	v_fma_f64 v[54:55], v[68:69], s[20:21], v[163:164]
	v_add_f64 v[2:3], v[78:79], v[2:3]
	v_fma_f64 v[68:69], v[68:69], s[22:23], v[82:83]
	v_add_f64 v[0:1], v[80:81], v[0:1]
	v_add_f64 v[20:21], v[84:85], v[20:21]
	v_fma_f64 v[80:81], v[34:35], s[18:19], v[66:67]
	v_mul_f64 v[64:65], v[64:65], s[12:13]
	v_add_f64 v[82:83], v[88:89], v[90:91]
	v_fma_f64 v[84:85], v[62:63], s[20:21], -v[70:71]
	v_add_f64 v[36:37], v[96:97], v[40:41]
	v_fma_f64 v[78:79], v[62:63], s[16:17], -v[125:126]
	v_add_f64 v[38:39], v[86:87], v[42:43]
	v_add_f64 v[40:41], v[169:170], v[111:112]
	v_fma_f64 v[48:49], v[34:35], s[10:11], v[48:49]
	v_fma_f64 v[34:35], v[34:35], s[30:31], v[66:67]
	;; [unrolled: 1-line block ×5, first 2 shown]
	v_add_f64 v[113:114], v[121:122], v[113:114]
	v_add_f64 v[30:31], v[6:7], v[30:31]
	v_fma_f64 v[153:154], v[32:33], s[36:37], v[141:142]
	v_add_f64 v[46:47], v[46:47], v[50:51]
	v_fma_f64 v[50:51], v[62:63], s[16:17], v[125:126]
	v_add_f64 v[22:23], v[54:55], v[22:23]
	v_add_f64 v[2:3], v[60:61], v[2:3]
	v_fma_f64 v[54:55], v[62:63], s[20:21], v[70:71]
	v_add_f64 v[0:1], v[68:69], v[0:1]
	;; [unrolled: 3-line block ×3, first 2 shown]
	v_add_f64 v[82:83], v[4:5], v[28:29]
	v_fma_f64 v[80:81], v[56:57], s[14:15], -v[64:65]
	v_add_f64 v[84:85], v[84:85], v[36:37]
	v_fma_f64 v[68:69], v[56:57], s[6:7], -v[52:53]
	v_add_f64 v[38:39], v[78:79], v[38:39]
	v_add_f64 v[60:61], v[155:156], v[10:11]
	v_fma_f64 v[62:63], v[56:57], s[20:21], -v[161:162]
	v_add_f64 v[40:41], v[127:128], v[40:41]
	v_fma_f64 v[141:142], v[32:33], s[24:25], v[141:142]
	v_fma_f64 v[121:122], v[32:33], s[30:31], v[157:158]
	;; [unrolled: 1-line block ×3, first 2 shown]
	v_add_f64 v[78:79], v[137:138], v[147:148]
	v_fma_f64 v[86:87], v[32:33], s[4:5], v[44:45]
	v_add_f64 v[46:47], v[48:49], v[46:47]
	v_fma_f64 v[52:53], v[56:57], s[6:7], v[52:53]
	v_add_f64 v[50:51], v[50:51], v[22:23]
	v_fma_f64 v[58:59], v[32:33], s[40:41], v[58:59]
	v_add_f64 v[88:89], v[34:35], v[2:3]
	v_fma_f64 v[56:57], v[56:57], s[14:15], v[64:65]
	v_add_f64 v[54:55], v[54:55], v[0:1]
	v_add_f64 v[36:37], v[30:31], v[26:27]
	;; [unrolled: 1-line block ×23, first 2 shown]
	ds_write_b128 v106, v[34:37] offset:2704
	ds_write_b128 v106, v[30:33] offset:2720
	;; [unrolled: 1-line block ×13, first 2 shown]
.LBB0_13:
	s_or_b32 exec_lo, exec_lo, s33
	v_add_nc_u16 v2, v72, 26
	v_add_nc_u16 v3, v72, 39
	;; [unrolled: 1-line block ×5, first 2 shown]
	v_and_b32_e32 v0, 0xff, v2
	v_and_b32_e32 v1, 0xff, v3
	v_and_b32_e32 v7, 0xff, v4
	v_and_b32_e32 v10, 0xff, v5
	v_and_b32_e32 v11, 0xff, v6
	v_mul_lo_u16 v0, 0x4f, v0
	v_mul_lo_u16 v12, 0x4f, v1
	;; [unrolled: 1-line block ×3, first 2 shown]
	v_mov_b32_e32 v73, 0
	v_mul_lo_u16 v10, 0x4f, v10
	v_lshrrev_b16 v0, 10, v0
	v_lshrrev_b16 v12, 10, v12
	v_mul_lo_u16 v11, 0x4f, v11
	v_lshrrev_b16 v7, 10, v7
	v_lshlrev_b64 v[8:9], 4, v[72:73]
	v_mul_lo_u16 v13, v0, 13
	v_lshrrev_b16 v10, 10, v10
	v_mul_lo_u16 v12, v12, 13
	v_lshrrev_b16 v11, 10, v11
	v_mul_lo_u16 v7, v7, 13
	v_sub_nc_u16 v2, v2, v13
	v_mov_b32_e32 v14, 4
	v_mul_lo_u16 v10, v10, 13
	v_add_co_u32 v0, s1, s8, v8
	v_sub_nc_u16 v12, v3, v12
	v_mul_lo_u16 v11, v11, 13
	v_add_co_ci_u32_e64 v1, s1, s9, v9, s1
	v_sub_nc_u16 v4, v4, v7
	v_lshlrev_b32_sdwa v73, v14, v2 dst_sel:DWORD dst_unused:UNUSED_PAD src0_sel:DWORD src1_sel:BYTE_0
	v_sub_nc_u16 v10, v5, v10
	v_lshlrev_b32_sdwa v102, v14, v12 dst_sel:DWORD dst_unused:UNUSED_PAD src0_sel:DWORD src1_sel:BYTE_0
	v_sub_nc_u16 v15, v6, v11
	s_waitcnt lgkmcnt(0)
	s_barrier
	buffer_gl0_inv
	global_load_dwordx4 v[0:3], v[0:1], off
	v_lshlrev_b32_sdwa v103, v14, v4 dst_sel:DWORD dst_unused:UNUSED_PAD src0_sel:DWORD src1_sel:BYTE_0
	global_load_dwordx4 v[4:7], v73, s[8:9]
	v_lshlrev_b32_sdwa v109, v14, v10 dst_sel:DWORD dst_unused:UNUSED_PAD src0_sel:DWORD src1_sel:BYTE_0
	global_load_dwordx4 v[10:13], v102, s[8:9]
	v_lshlrev_b32_sdwa v110, v14, v15 dst_sel:DWORD dst_unused:UNUSED_PAD src0_sel:DWORD src1_sel:BYTE_0
	s_clause 0x2
	global_load_dwordx4 v[14:17], v103, s[8:9]
	global_load_dwordx4 v[18:21], v109, s[8:9]
	;; [unrolled: 1-line block ×3, first 2 shown]
	ds_read_b128 v[26:29], v107 offset:1456
	ds_read_b128 v[30:33], v107 offset:1664
	;; [unrolled: 1-line block ×8, first 2 shown]
	ds_read_b128 v[58:61], v104
	ds_read_b128 v[62:65], v107 offset:208
	ds_read_b128 v[66:69], v107 offset:416
	;; [unrolled: 1-line block ×5, first 2 shown]
	s_waitcnt vmcnt(0) lgkmcnt(0)
	s_barrier
	buffer_gl0_inv
	s_mov_b32 s12, 0x37e14327
	s_mov_b32 s4, 0x36b3c0b5
	;; [unrolled: 1-line block ×20, first 2 shown]
	s_add_u32 s1, s8, 0xa90
	v_mul_f64 v[70:71], v[28:29], v[2:3]
	v_mul_f64 v[88:89], v[26:27], v[2:3]
	;; [unrolled: 1-line block ×14, first 2 shown]
	v_fma_f64 v[26:27], v[26:27], v[0:1], -v[70:71]
	v_fma_f64 v[28:29], v[28:29], v[0:1], v[88:89]
	v_fma_f64 v[30:31], v[30:31], v[0:1], -v[90:91]
	v_fma_f64 v[32:33], v[32:33], v[0:1], v[2:3]
	;; [unrolled: 2-line block ×7, first 2 shown]
	v_add_f64 v[0:1], v[58:59], -v[26:27]
	v_add_f64 v[2:3], v[60:61], -v[28:29]
	;; [unrolled: 1-line block ×14, first 2 shown]
	v_mul_u32_u24_e32 v30, 6, v72
	v_lshlrev_b32_e32 v70, 4, v30
	v_fma_f64 v[30:31], v[58:59], 2.0, -v[0:1]
	v_fma_f64 v[32:33], v[60:61], 2.0, -v[2:3]
	;; [unrolled: 1-line block ×14, first 2 shown]
	v_add3_u32 v58, 0, v73, v108
	v_add3_u32 v59, 0, v102, v108
	v_add3_u32 v60, 0, v103, v108
	v_add3_u32 v61, 0, v109, v108
	v_add3_u32 v62, 0, v110, v108
	ds_write_b128 v107, v[0:3] offset:208
	ds_write_b128 v107, v[4:7] offset:624
	ds_write_b128 v58, v[10:13] offset:1040
	ds_write_b128 v59, v[14:17] offset:1456
	ds_write_b128 v60, v[18:21] offset:1872
	ds_write_b128 v61, v[22:25] offset:2288
	ds_write_b128 v62, v[26:29] offset:2704
	ds_write_b128 v107, v[30:33]
	ds_write_b128 v107, v[34:37] offset:416
	ds_write_b128 v58, v[38:41] offset:832
	;; [unrolled: 1-line block ×6, first 2 shown]
	s_waitcnt lgkmcnt(0)
	s_barrier
	buffer_gl0_inv
	s_clause 0xb
	global_load_dwordx4 v[0:3], v70, s[8:9] offset:208
	global_load_dwordx4 v[4:7], v70, s[8:9] offset:224
	;; [unrolled: 1-line block ×12, first 2 shown]
	ds_read_b128 v[50:53], v107 offset:416
	ds_read_b128 v[54:57], v107 offset:832
	;; [unrolled: 1-line block ×12, first 2 shown]
	s_waitcnt vmcnt(11) lgkmcnt(11)
	v_mul_f64 v[70:71], v[52:53], v[2:3]
	v_mul_f64 v[2:3], v[50:51], v[2:3]
	s_waitcnt vmcnt(10) lgkmcnt(10)
	v_mul_f64 v[108:109], v[56:57], v[6:7]
	v_mul_f64 v[6:7], v[54:55], v[6:7]
	;; [unrolled: 3-line block ×4, first 2 shown]
	v_mul_f64 v[110:111], v[60:61], v[12:13]
	v_mul_f64 v[12:13], v[58:59], v[12:13]
	s_waitcnt vmcnt(6) lgkmcnt(6)
	v_mul_f64 v[116:117], v[78:79], v[24:25]
	v_mul_f64 v[24:25], v[76:77], v[24:25]
	s_waitcnt vmcnt(5) lgkmcnt(5)
	;; [unrolled: 3-line block ×5, first 2 shown]
	v_mul_f64 v[128:129], v[102:103], v[48:49]
	v_mul_f64 v[48:49], v[100:101], v[48:49]
	;; [unrolled: 1-line block ×6, first 2 shown]
	v_fma_f64 v[50:51], v[50:51], v[0:1], -v[70:71]
	v_fma_f64 v[52:53], v[52:53], v[0:1], v[2:3]
	v_fma_f64 v[54:55], v[54:55], v[4:5], -v[108:109]
	v_fma_f64 v[56:57], v[56:57], v[4:5], v[6:7]
	;; [unrolled: 2-line block ×12, first 2 shown]
	ds_read_b128 v[0:3], v104
	ds_read_b128 v[4:7], v107 offset:208
	s_waitcnt lgkmcnt(0)
	v_add_f64 v[44:45], v[50:51], v[62:63]
	v_add_f64 v[58:59], v[52:53], v[14:15]
	;; [unrolled: 1-line block ×4, first 2 shown]
	v_add_f64 v[50:51], v[50:51], -v[62:63]
	v_add_f64 v[14:15], v[52:53], -v[14:15]
	v_add_f64 v[52:53], v[20:21], v[12:13]
	v_add_f64 v[62:63], v[10:11], v[22:23]
	v_add_f64 v[12:13], v[12:13], -v[20:21]
	v_add_f64 v[10:11], v[22:23], -v[10:11]
	v_add_f64 v[20:21], v[24:25], v[28:29]
	v_add_f64 v[22:23], v[26:27], v[38:39]
	;; [unrolled: 4-line block ×3, first 2 shown]
	v_add_f64 v[16:17], v[54:55], -v[16:17]
	v_add_f64 v[18:19], v[56:57], -v[18:19]
	;; [unrolled: 1-line block ×4, first 2 shown]
	v_add_f64 v[40:41], v[48:49], v[36:37]
	v_add_f64 v[46:47], v[34:35], v[42:43]
	v_add_f64 v[36:37], v[36:37], -v[48:49]
	v_add_f64 v[34:35], v[42:43], -v[34:35]
	v_add_f64 v[42:43], v[60:61], v[44:45]
	v_add_f64 v[48:49], v[64:65], v[58:59]
	v_add_f64 v[54:55], v[60:61], -v[44:45]
	v_add_f64 v[56:57], v[64:65], -v[58:59]
	;; [unrolled: 1-line block ×6, first 2 shown]
	s_barrier
	buffer_gl0_inv
	v_add_f64 v[78:79], v[28:29], v[20:21]
	v_add_f64 v[80:81], v[38:39], v[22:23]
	;; [unrolled: 1-line block ×4, first 2 shown]
	v_add_f64 v[70:71], v[12:13], -v[16:17]
	v_add_f64 v[76:77], v[10:11], -v[18:19]
	v_add_f64 v[16:17], v[16:17], -v[50:51]
	v_add_f64 v[18:19], v[18:19], -v[14:15]
	v_add_f64 v[82:83], v[28:29], -v[20:21]
	v_add_f64 v[84:85], v[38:39], -v[22:23]
	v_add_f64 v[42:43], v[52:53], v[42:43]
	v_add_f64 v[48:49], v[62:63], v[48:49]
	v_add_f64 v[20:21], v[20:21], -v[40:41]
	v_add_f64 v[22:23], v[22:23], -v[46:47]
	;; [unrolled: 1-line block ×4, first 2 shown]
	v_add_f64 v[86:87], v[36:37], v[32:33]
	v_add_f64 v[88:89], v[34:35], v[30:31]
	v_add_f64 v[90:91], v[36:37], -v[32:33]
	v_add_f64 v[92:93], v[34:35], -v[30:31]
	;; [unrolled: 1-line block ×4, first 2 shown]
	v_add_f64 v[40:41], v[40:41], v[78:79]
	v_add_f64 v[46:47], v[46:47], v[80:81]
	v_add_f64 v[12:13], v[50:51], -v[12:13]
	v_add_f64 v[10:11], v[14:15], -v[10:11]
	v_add_f64 v[50:51], v[66:67], v[50:51]
	v_add_f64 v[14:15], v[68:69], v[14:15]
	v_mul_f64 v[44:45], v[44:45], s[12:13]
	v_mul_f64 v[52:53], v[58:59], s[12:13]
	;; [unrolled: 1-line block ×6, first 2 shown]
	v_add_f64 v[0:1], v[0:1], v[42:43]
	v_add_f64 v[2:3], v[2:3], v[48:49]
	v_mul_f64 v[70:71], v[16:17], s[6:7]
	v_mul_f64 v[76:77], v[18:19], s[6:7]
	v_add_f64 v[36:37], v[24:25], -v[36:37]
	v_add_f64 v[34:35], v[26:27], -v[34:35]
	v_add_f64 v[24:25], v[86:87], v[24:25]
	v_add_f64 v[26:27], v[88:89], v[26:27]
	v_mul_f64 v[20:21], v[20:21], s[12:13]
	v_mul_f64 v[22:23], v[22:23], s[12:13]
	;; [unrolled: 1-line block ×4, first 2 shown]
	v_add_f64 v[4:5], v[4:5], v[40:41]
	v_add_f64 v[6:7], v[6:7], v[46:47]
	v_mul_f64 v[90:91], v[32:33], s[6:7]
	v_mul_f64 v[92:93], v[30:31], s[6:7]
	;; [unrolled: 1-line block ×4, first 2 shown]
	v_fma_f64 v[60:61], v[60:61], s[4:5], v[44:45]
	v_fma_f64 v[64:65], v[64:65], s[4:5], v[52:53]
	v_fma_f64 v[58:59], v[54:55], s[16:17], -v[58:59]
	v_fma_f64 v[62:63], v[56:57], s[16:17], -v[62:63]
	v_fma_f64 v[44:45], v[54:55], s[14:15], -v[44:45]
	v_fma_f64 v[52:53], v[56:57], s[14:15], -v[52:53]
	v_fma_f64 v[54:55], v[12:13], s[22:23], v[66:67]
	v_fma_f64 v[56:57], v[10:11], s[22:23], v[68:69]
	;; [unrolled: 1-line block ×4, first 2 shown]
	v_fma_f64 v[16:17], v[16:17], s[6:7], -v[66:67]
	v_fma_f64 v[12:13], v[12:13], s[24:25], -v[70:71]
	;; [unrolled: 1-line block ×4, first 2 shown]
	v_fma_f64 v[28:29], v[28:29], s[4:5], v[20:21]
	v_fma_f64 v[38:39], v[38:39], s[4:5], v[22:23]
	;; [unrolled: 1-line block ×6, first 2 shown]
	v_fma_f64 v[36:37], v[36:37], s[24:25], -v[90:91]
	v_fma_f64 v[34:35], v[34:35], s[24:25], -v[92:93]
	;; [unrolled: 1-line block ×8, first 2 shown]
	v_fma_f64 v[54:55], v[50:51], s[20:21], v[54:55]
	v_fma_f64 v[56:57], v[14:15], s[20:21], v[56:57]
	v_add_f64 v[60:61], v[60:61], v[42:43]
	v_add_f64 v[64:65], v[64:65], v[48:49]
	v_fma_f64 v[78:79], v[50:51], s[20:21], v[16:17]
	v_fma_f64 v[50:51], v[50:51], s[20:21], v[12:13]
	;; [unrolled: 1-line block ×3, first 2 shown]
	v_add_f64 v[44:45], v[44:45], v[42:43]
	v_add_f64 v[52:53], v[52:53], v[48:49]
	v_fma_f64 v[80:81], v[14:15], s[20:21], v[18:19]
	v_add_f64 v[42:43], v[58:59], v[42:43]
	v_add_f64 v[48:49], v[62:63], v[48:49]
	v_fma_f64 v[58:59], v[24:25], s[20:21], v[70:71]
	v_fma_f64 v[62:63], v[26:27], s[20:21], v[76:77]
	v_add_f64 v[88:89], v[28:29], v[40:41]
	v_add_f64 v[90:91], v[38:39], v[46:47]
	v_fma_f64 v[84:85], v[24:25], s[20:21], v[36:37]
	;; [unrolled: 4-line block ×3, first 2 shown]
	v_fma_f64 v[76:77], v[26:27], s[20:21], v[30:31]
	v_add_f64 v[66:67], v[66:67], v[40:41]
	v_add_f64 v[68:69], v[68:69], v[46:47]
	;; [unrolled: 1-line block ×3, first 2 shown]
	v_add_f64 v[12:13], v[64:65], -v[54:55]
	v_add_f64 v[30:31], v[60:61], -v[56:57]
	v_add_f64 v[32:33], v[54:55], v[64:65]
	s_addc_u32 s4, s9, 0
	v_add_f64 v[14:15], v[82:83], v[44:45]
	v_add_f64 v[16:17], v[52:53], -v[50:51]
	v_add_f64 v[26:27], v[44:45], -v[82:83]
	;; [unrolled: 1-line block ×3, first 2 shown]
	v_add_f64 v[20:21], v[78:79], v[48:49]
	v_add_f64 v[22:23], v[80:81], v[42:43]
	v_add_f64 v[24:25], v[48:49], -v[78:79]
	v_add_f64 v[28:29], v[50:51], v[52:53]
	v_add_f64 v[34:35], v[62:63], v[88:89]
	v_add_f64 v[36:37], v[90:91], -v[58:59]
	v_add_f64 v[54:55], v[88:89], -v[62:63]
	v_add_f64 v[38:39], v[86:87], v[92:93]
	v_add_f64 v[40:41], v[94:95], -v[84:85]
	v_add_f64 v[50:51], v[92:93], -v[86:87]
	v_add_f64 v[52:53], v[84:85], v[94:95]
	v_add_f64 v[42:43], v[66:67], -v[76:77]
	v_add_f64 v[44:45], v[70:71], v[68:69]
	v_add_f64 v[46:47], v[76:77], v[66:67]
	v_add_f64 v[48:49], v[68:69], -v[70:71]
	v_add_f64 v[56:57], v[58:59], v[90:91]
	ds_write_b128 v107, v[0:3]
	ds_write_b128 v107, v[4:7] offset:208
	ds_write_b128 v107, v[10:13] offset:416
	;; [unrolled: 1-line block ×13, first 2 shown]
	s_waitcnt lgkmcnt(0)
	s_barrier
	buffer_gl0_inv
	ds_read_b128 v[4:7], v104
	v_sub_nc_u32_e32 v14, v106, v105
                                        ; implicit-def: $vgpr0_vgpr1
                                        ; implicit-def: $vgpr10_vgpr11
                                        ; implicit-def: $vgpr12_vgpr13
	s_and_saveexec_b32 s5, s0
	s_xor_b32 s5, exec_lo, s5
	s_cbranch_execz .LBB0_15
; %bb.14:
	v_add_co_u32 v0, s0, s1, v8
	v_add_co_ci_u32_e64 v1, s0, s4, v9, s0
                                        ; implicit-def: $vgpr106
	global_load_dwordx4 v[15:18], v[0:1], off
	ds_read_b128 v[0:3], v14 offset:2912
	s_waitcnt lgkmcnt(0)
	v_add_f64 v[10:11], v[4:5], -v[0:1]
	v_add_f64 v[12:13], v[6:7], v[2:3]
	v_add_f64 v[2:3], v[6:7], -v[2:3]
	v_add_f64 v[0:1], v[4:5], v[0:1]
	v_mul_f64 v[6:7], v[10:11], 0.5
	v_mul_f64 v[4:5], v[12:13], 0.5
	;; [unrolled: 1-line block ×3, first 2 shown]
	s_waitcnt vmcnt(0)
	v_mul_f64 v[10:11], v[6:7], v[17:18]
	v_fma_f64 v[12:13], v[4:5], v[17:18], v[2:3]
	v_fma_f64 v[2:3], v[4:5], v[17:18], -v[2:3]
	v_fma_f64 v[19:20], v[0:1], 0.5, v[10:11]
	v_fma_f64 v[0:1], v[0:1], 0.5, -v[10:11]
	v_fma_f64 v[12:13], -v[15:16], v[6:7], v[12:13]
	v_fma_f64 v[2:3], -v[15:16], v[6:7], v[2:3]
	v_fma_f64 v[10:11], v[4:5], v[15:16], v[19:20]
	v_fma_f64 v[0:1], -v[4:5], v[15:16], v[0:1]
                                        ; implicit-def: $vgpr4_vgpr5
.LBB0_15:
	s_andn2_saveexec_b32 s0, s5
	s_cbranch_execz .LBB0_17
; %bb.16:
	ds_read_b64 v[15:16], v106 offset:1464
	s_waitcnt lgkmcnt(1)
	v_add_f64 v[10:11], v[4:5], v[6:7]
	v_add_f64 v[0:1], v[4:5], -v[6:7]
	v_mov_b32_e32 v12, 0
	v_mov_b32_e32 v13, 0
	;; [unrolled: 1-line block ×4, first 2 shown]
	s_waitcnt lgkmcnt(0)
	v_xor_b32_e32 v16, 0x80000000, v16
	ds_write_b64 v106, v[15:16] offset:1464
.LBB0_17:
	s_or_b32 exec_lo, exec_lo, s0
	v_add_co_u32 v23, s0, s1, v8
	v_add_co_ci_u32_e64 v24, s0, s4, v9, s0
	s_waitcnt lgkmcnt(0)
	s_clause 0x1
	global_load_dwordx4 v[4:7], v[23:24], off offset:208
	global_load_dwordx4 v[15:18], v[23:24], off offset:416
	ds_write2_b64 v104, v[10:11], v[12:13] offset1:1
	ds_write_b128 v14, v[0:3] offset:2912
	ds_read_b128 v[0:3], v104 offset:208
	ds_read_b128 v[10:13], v14 offset:2704
	global_load_dwordx4 v[19:22], v[23:24], off offset:624
	s_waitcnt lgkmcnt(0)
	v_add_f64 v[25:26], v[0:1], -v[10:11]
	v_add_f64 v[27:28], v[2:3], v[12:13]
	v_add_f64 v[2:3], v[2:3], -v[12:13]
	v_add_f64 v[0:1], v[0:1], v[10:11]
	v_mul_f64 v[12:13], v[25:26], 0.5
	v_mul_f64 v[25:26], v[27:28], 0.5
	v_mul_f64 v[2:3], v[2:3], 0.5
	s_waitcnt vmcnt(2)
	v_mul_f64 v[10:11], v[12:13], v[6:7]
	v_fma_f64 v[27:28], v[25:26], v[6:7], v[2:3]
	v_fma_f64 v[2:3], v[25:26], v[6:7], -v[2:3]
	v_fma_f64 v[6:7], v[0:1], 0.5, v[10:11]
	v_fma_f64 v[0:1], v[0:1], 0.5, -v[10:11]
	v_fma_f64 v[10:11], -v[4:5], v[12:13], v[27:28]
	v_fma_f64 v[2:3], -v[4:5], v[12:13], v[2:3]
	v_fma_f64 v[6:7], v[25:26], v[4:5], v[6:7]
	v_fma_f64 v[0:1], -v[25:26], v[4:5], v[0:1]
	ds_write2_b64 v104, v[6:7], v[10:11] offset0:26 offset1:27
	ds_write_b128 v14, v[0:3] offset:2704
	ds_read_b128 v[0:3], v104 offset:416
	ds_read_b128 v[4:7], v14 offset:2496
	global_load_dwordx4 v[10:13], v[23:24], off offset:832
	s_waitcnt lgkmcnt(0)
	v_add_f64 v[25:26], v[0:1], -v[4:5]
	v_add_f64 v[27:28], v[2:3], v[6:7]
	v_add_f64 v[2:3], v[2:3], -v[6:7]
	v_add_f64 v[0:1], v[0:1], v[4:5]
	v_mul_f64 v[6:7], v[25:26], 0.5
	v_mul_f64 v[25:26], v[27:28], 0.5
	v_mul_f64 v[2:3], v[2:3], 0.5
	s_waitcnt vmcnt(2)
	v_mul_f64 v[4:5], v[6:7], v[17:18]
	v_fma_f64 v[27:28], v[25:26], v[17:18], v[2:3]
	v_fma_f64 v[2:3], v[25:26], v[17:18], -v[2:3]
	v_fma_f64 v[17:18], v[0:1], 0.5, v[4:5]
	v_fma_f64 v[0:1], v[0:1], 0.5, -v[4:5]
	v_fma_f64 v[4:5], -v[15:16], v[6:7], v[27:28]
	v_fma_f64 v[2:3], -v[15:16], v[6:7], v[2:3]
	v_fma_f64 v[6:7], v[25:26], v[15:16], v[17:18]
	v_fma_f64 v[0:1], -v[25:26], v[15:16], v[0:1]
	ds_write2_b64 v104, v[6:7], v[4:5] offset0:52 offset1:53
	;; [unrolled: 23-line block ×4, first 2 shown]
	ds_write_b128 v14, v[0:3] offset:2080
	ds_read_b128 v[0:3], v104 offset:1040
	ds_read_b128 v[4:7], v14 offset:1872
	s_waitcnt lgkmcnt(0)
	v_add_f64 v[10:11], v[0:1], -v[4:5]
	v_add_f64 v[12:13], v[2:3], v[6:7]
	v_add_f64 v[2:3], v[2:3], -v[6:7]
	v_add_f64 v[0:1], v[0:1], v[4:5]
	v_mul_f64 v[6:7], v[10:11], 0.5
	v_mul_f64 v[10:11], v[12:13], 0.5
	v_mul_f64 v[2:3], v[2:3], 0.5
	s_waitcnt vmcnt(1)
	v_mul_f64 v[4:5], v[6:7], v[17:18]
	v_fma_f64 v[12:13], v[10:11], v[17:18], v[2:3]
	v_fma_f64 v[2:3], v[10:11], v[17:18], -v[2:3]
	v_fma_f64 v[17:18], v[0:1], 0.5, v[4:5]
	v_fma_f64 v[0:1], v[0:1], 0.5, -v[4:5]
	v_fma_f64 v[4:5], -v[15:16], v[6:7], v[12:13]
	v_fma_f64 v[2:3], -v[15:16], v[6:7], v[2:3]
	v_fma_f64 v[6:7], v[10:11], v[15:16], v[17:18]
	v_fma_f64 v[0:1], -v[10:11], v[15:16], v[0:1]
	ds_write2_b64 v104, v[6:7], v[4:5] offset0:130 offset1:131
	ds_write_b128 v14, v[0:3] offset:1872
	ds_read_b128 v[0:3], v104 offset:1248
	ds_read_b128 v[4:7], v14 offset:1664
	s_waitcnt lgkmcnt(0)
	v_add_f64 v[10:11], v[0:1], -v[4:5]
	v_add_f64 v[12:13], v[2:3], v[6:7]
	v_add_f64 v[2:3], v[2:3], -v[6:7]
	v_add_f64 v[0:1], v[0:1], v[4:5]
	v_mul_f64 v[6:7], v[10:11], 0.5
	v_mul_f64 v[10:11], v[12:13], 0.5
	;; [unrolled: 1-line block ×3, first 2 shown]
	s_waitcnt vmcnt(0)
	v_mul_f64 v[4:5], v[6:7], v[21:22]
	v_fma_f64 v[12:13], v[10:11], v[21:22], v[2:3]
	v_fma_f64 v[2:3], v[10:11], v[21:22], -v[2:3]
	v_fma_f64 v[15:16], v[0:1], 0.5, v[4:5]
	v_fma_f64 v[0:1], v[0:1], 0.5, -v[4:5]
	v_fma_f64 v[4:5], -v[19:20], v[6:7], v[12:13]
	v_fma_f64 v[2:3], -v[19:20], v[6:7], v[2:3]
	v_fma_f64 v[6:7], v[10:11], v[19:20], v[15:16]
	v_fma_f64 v[0:1], -v[10:11], v[19:20], v[0:1]
	ds_write2_b64 v104, v[6:7], v[4:5] offset0:156 offset1:157
	ds_write_b128 v14, v[0:3] offset:1664
	s_waitcnt lgkmcnt(0)
	s_barrier
	buffer_gl0_inv
	s_and_saveexec_b32 s0, vcc_lo
	s_cbranch_execz .LBB0_20
; %bb.18:
	ds_read_b128 v[2:5], v104
	ds_read_b128 v[10:13], v104 offset:208
	ds_read_b128 v[14:17], v104 offset:416
	;; [unrolled: 1-line block ×6, first 2 shown]
	v_add_co_u32 v0, vcc_lo, s2, v74
	v_add_co_ci_u32_e32 v1, vcc_lo, s3, v75, vcc_lo
	ds_read_b128 v[34:37], v104 offset:1456
	ds_read_b128 v[38:41], v104 offset:1664
	;; [unrolled: 1-line block ×3, first 2 shown]
	v_add_co_u32 v58, vcc_lo, v0, v8
	v_add_co_ci_u32_e32 v59, vcc_lo, v1, v9, vcc_lo
	ds_read_b128 v[6:9], v104 offset:2080
	ds_read_b128 v[46:49], v104 offset:2288
	;; [unrolled: 1-line block ×4, first 2 shown]
	s_waitcnt lgkmcnt(13)
	global_store_dwordx4 v[58:59], v[2:5], off
	s_waitcnt lgkmcnt(12)
	global_store_dwordx4 v[58:59], v[10:13], off offset:208
	s_waitcnt lgkmcnt(11)
	global_store_dwordx4 v[58:59], v[14:17], off offset:416
	s_waitcnt lgkmcnt(10)
	global_store_dwordx4 v[58:59], v[18:21], off offset:624
	s_waitcnt lgkmcnt(9)
	global_store_dwordx4 v[58:59], v[22:25], off offset:832
	s_waitcnt lgkmcnt(8)
	global_store_dwordx4 v[58:59], v[26:29], off offset:1040
	s_waitcnt lgkmcnt(7)
	global_store_dwordx4 v[58:59], v[30:33], off offset:1248
	v_add_co_u32 v2, vcc_lo, 0x800, v58
	v_add_co_ci_u32_e32 v3, vcc_lo, 0, v59, vcc_lo
	v_cmp_eq_u32_e32 vcc_lo, 12, v72
	s_waitcnt lgkmcnt(6)
	global_store_dwordx4 v[58:59], v[34:37], off offset:1456
	s_waitcnt lgkmcnt(5)
	global_store_dwordx4 v[58:59], v[38:41], off offset:1664
	;; [unrolled: 2-line block ×7, first 2 shown]
	s_and_b32 exec_lo, exec_lo, vcc_lo
	s_cbranch_execz .LBB0_20
; %bb.19:
	ds_read_b128 v[2:5], v104 offset:2720
	v_add_co_u32 v0, vcc_lo, 0x800, v0
	v_add_co_ci_u32_e32 v1, vcc_lo, 0, v1, vcc_lo
	s_waitcnt lgkmcnt(0)
	global_store_dwordx4 v[0:1], v[2:5], off offset:864
.LBB0_20:
	s_endpgm
	.section	.rodata,"a",@progbits
	.p2align	6, 0x0
	.amdhsa_kernel fft_rtc_fwd_len182_factors_13_2_7_wgs_52_tpt_13_dp_ip_CI_unitstride_sbrr_R2C_dirReg
		.amdhsa_group_segment_fixed_size 0
		.amdhsa_private_segment_fixed_size 0
		.amdhsa_kernarg_size 88
		.amdhsa_user_sgpr_count 6
		.amdhsa_user_sgpr_private_segment_buffer 1
		.amdhsa_user_sgpr_dispatch_ptr 0
		.amdhsa_user_sgpr_queue_ptr 0
		.amdhsa_user_sgpr_kernarg_segment_ptr 1
		.amdhsa_user_sgpr_dispatch_id 0
		.amdhsa_user_sgpr_flat_scratch_init 0
		.amdhsa_user_sgpr_private_segment_size 0
		.amdhsa_wavefront_size32 1
		.amdhsa_uses_dynamic_stack 0
		.amdhsa_system_sgpr_private_segment_wavefront_offset 0
		.amdhsa_system_sgpr_workgroup_id_x 1
		.amdhsa_system_sgpr_workgroup_id_y 0
		.amdhsa_system_sgpr_workgroup_id_z 0
		.amdhsa_system_sgpr_workgroup_info 0
		.amdhsa_system_vgpr_workitem_id 0
		.amdhsa_next_free_vgpr 195
		.amdhsa_next_free_sgpr 44
		.amdhsa_reserve_vcc 1
		.amdhsa_reserve_flat_scratch 0
		.amdhsa_float_round_mode_32 0
		.amdhsa_float_round_mode_16_64 0
		.amdhsa_float_denorm_mode_32 3
		.amdhsa_float_denorm_mode_16_64 3
		.amdhsa_dx10_clamp 1
		.amdhsa_ieee_mode 1
		.amdhsa_fp16_overflow 0
		.amdhsa_workgroup_processor_mode 1
		.amdhsa_memory_ordered 1
		.amdhsa_forward_progress 0
		.amdhsa_shared_vgpr_count 0
		.amdhsa_exception_fp_ieee_invalid_op 0
		.amdhsa_exception_fp_denorm_src 0
		.amdhsa_exception_fp_ieee_div_zero 0
		.amdhsa_exception_fp_ieee_overflow 0
		.amdhsa_exception_fp_ieee_underflow 0
		.amdhsa_exception_fp_ieee_inexact 0
		.amdhsa_exception_int_div_zero 0
	.end_amdhsa_kernel
	.text
.Lfunc_end0:
	.size	fft_rtc_fwd_len182_factors_13_2_7_wgs_52_tpt_13_dp_ip_CI_unitstride_sbrr_R2C_dirReg, .Lfunc_end0-fft_rtc_fwd_len182_factors_13_2_7_wgs_52_tpt_13_dp_ip_CI_unitstride_sbrr_R2C_dirReg
                                        ; -- End function
	.section	.AMDGPU.csdata,"",@progbits
; Kernel info:
; codeLenInByte = 14004
; NumSgprs: 46
; NumVgprs: 195
; ScratchSize: 0
; MemoryBound: 0
; FloatMode: 240
; IeeeMode: 1
; LDSByteSize: 0 bytes/workgroup (compile time only)
; SGPRBlocks: 5
; VGPRBlocks: 24
; NumSGPRsForWavesPerEU: 46
; NumVGPRsForWavesPerEU: 195
; Occupancy: 4
; WaveLimiterHint : 1
; COMPUTE_PGM_RSRC2:SCRATCH_EN: 0
; COMPUTE_PGM_RSRC2:USER_SGPR: 6
; COMPUTE_PGM_RSRC2:TRAP_HANDLER: 0
; COMPUTE_PGM_RSRC2:TGID_X_EN: 1
; COMPUTE_PGM_RSRC2:TGID_Y_EN: 0
; COMPUTE_PGM_RSRC2:TGID_Z_EN: 0
; COMPUTE_PGM_RSRC2:TIDIG_COMP_CNT: 0
	.text
	.p2alignl 6, 3214868480
	.fill 48, 4, 3214868480
	.type	__hip_cuid_8d70d4906cafacf6,@object ; @__hip_cuid_8d70d4906cafacf6
	.section	.bss,"aw",@nobits
	.globl	__hip_cuid_8d70d4906cafacf6
__hip_cuid_8d70d4906cafacf6:
	.byte	0                               ; 0x0
	.size	__hip_cuid_8d70d4906cafacf6, 1

	.ident	"AMD clang version 19.0.0git (https://github.com/RadeonOpenCompute/llvm-project roc-6.4.0 25133 c7fe45cf4b819c5991fe208aaa96edf142730f1d)"
	.section	".note.GNU-stack","",@progbits
	.addrsig
	.addrsig_sym __hip_cuid_8d70d4906cafacf6
	.amdgpu_metadata
---
amdhsa.kernels:
  - .args:
      - .actual_access:  read_only
        .address_space:  global
        .offset:         0
        .size:           8
        .value_kind:     global_buffer
      - .offset:         8
        .size:           8
        .value_kind:     by_value
      - .actual_access:  read_only
        .address_space:  global
        .offset:         16
        .size:           8
        .value_kind:     global_buffer
      - .actual_access:  read_only
        .address_space:  global
        .offset:         24
        .size:           8
        .value_kind:     global_buffer
      - .offset:         32
        .size:           8
        .value_kind:     by_value
      - .actual_access:  read_only
        .address_space:  global
        .offset:         40
        .size:           8
        .value_kind:     global_buffer
      - .actual_access:  read_only
        .address_space:  global
        .offset:         48
        .size:           8
        .value_kind:     global_buffer
      - .offset:         56
        .size:           4
        .value_kind:     by_value
      - .actual_access:  read_only
        .address_space:  global
        .offset:         64
        .size:           8
        .value_kind:     global_buffer
      - .actual_access:  read_only
        .address_space:  global
        .offset:         72
        .size:           8
        .value_kind:     global_buffer
      - .address_space:  global
        .offset:         80
        .size:           8
        .value_kind:     global_buffer
    .group_segment_fixed_size: 0
    .kernarg_segment_align: 8
    .kernarg_segment_size: 88
    .language:       OpenCL C
    .language_version:
      - 2
      - 0
    .max_flat_workgroup_size: 52
    .name:           fft_rtc_fwd_len182_factors_13_2_7_wgs_52_tpt_13_dp_ip_CI_unitstride_sbrr_R2C_dirReg
    .private_segment_fixed_size: 0
    .sgpr_count:     46
    .sgpr_spill_count: 0
    .symbol:         fft_rtc_fwd_len182_factors_13_2_7_wgs_52_tpt_13_dp_ip_CI_unitstride_sbrr_R2C_dirReg.kd
    .uniform_work_group_size: 1
    .uses_dynamic_stack: false
    .vgpr_count:     195
    .vgpr_spill_count: 0
    .wavefront_size: 32
    .workgroup_processor_mode: 1
amdhsa.target:   amdgcn-amd-amdhsa--gfx1030
amdhsa.version:
  - 1
  - 2
...

	.end_amdgpu_metadata
